;; amdgpu-corpus repo=ROCm/rocFFT kind=compiled arch=gfx1201 opt=O3
	.text
	.amdgcn_target "amdgcn-amd-amdhsa--gfx1201"
	.amdhsa_code_object_version 6
	.protected	bluestein_single_fwd_len726_dim1_half_op_CI_CI ; -- Begin function bluestein_single_fwd_len726_dim1_half_op_CI_CI
	.globl	bluestein_single_fwd_len726_dim1_half_op_CI_CI
	.p2align	8
	.type	bluestein_single_fwd_len726_dim1_half_op_CI_CI,@function
bluestein_single_fwd_len726_dim1_half_op_CI_CI: ; @bluestein_single_fwd_len726_dim1_half_op_CI_CI
; %bb.0:
	s_load_b128 s[12:15], s[0:1], 0x28
	v_mul_u32_u24_e32 v1, 0x3e1, v0
	v_mov_b32_e32 v17, 0
	s_mov_b32 s2, exec_lo
	s_delay_alu instid0(VALU_DEP_2) | instskip(NEXT) | instid1(VALU_DEP_1)
	v_lshrrev_b32_e32 v1, 16, v1
	v_lshl_add_u32 v16, ttmp9, 1, v1
	s_wait_kmcnt 0x0
	s_delay_alu instid0(VALU_DEP_1)
	v_cmpx_gt_u64_e64 s[12:13], v[16:17]
	s_cbranch_execz .LBB0_10
; %bb.1:
	s_clause 0x1
	s_load_b128 s[4:7], s[0:1], 0x18
	s_load_b128 s[8:11], s[0:1], 0x0
	v_mul_lo_u16 v2, 0x42, v1
	s_delay_alu instid0(VALU_DEP_1)
	v_sub_nc_u16 v2, v0, v2
	s_wait_kmcnt 0x0
	s_load_b128 s[16:19], s[4:5], 0x0
	s_wait_kmcnt 0x0
	v_mad_co_u64_u32 v[3:4], null, s18, v16, 0
	v_and_b32_e32 v49, 0xffff, v2
	s_mul_u64 s[2:3], s[16:17], 0x108
	s_delay_alu instid0(VALU_DEP_2) | instskip(NEXT) | instid1(VALU_DEP_2)
	v_mov_b32_e32 v0, v4
	v_mad_co_u64_u32 v[5:6], null, s16, v49, 0
	s_delay_alu instid0(VALU_DEP_1) | instskip(NEXT) | instid1(VALU_DEP_3)
	v_dual_mov_b32 v4, v6 :: v_dual_lshlrev_b32 v59, 2, v49
	v_mad_co_u64_u32 v[6:7], null, s19, v16, v[0:1]
	v_and_b32_e32 v1, 1, v1
	s_delay_alu instid0(VALU_DEP_3) | instskip(NEXT) | instid1(VALU_DEP_3)
	v_mad_co_u64_u32 v[7:8], null, s17, v49, v[4:5]
	v_mov_b32_e32 v4, v6
	s_delay_alu instid0(VALU_DEP_2) | instskip(NEXT) | instid1(VALU_DEP_2)
	v_mov_b32_e32 v6, v7
	v_lshlrev_b64_e32 v[3:4], 2, v[3:4]
	s_delay_alu instid0(VALU_DEP_2) | instskip(NEXT) | instid1(VALU_DEP_2)
	v_lshlrev_b64_e32 v[5:6], 2, v[5:6]
	v_add_co_u32 v0, vcc_lo, s14, v3
	s_delay_alu instid0(VALU_DEP_3) | instskip(NEXT) | instid1(VALU_DEP_2)
	v_add_co_ci_u32_e32 v4, vcc_lo, s15, v4, vcc_lo
	v_add_co_u32 v3, vcc_lo, v0, v5
	s_wait_alu 0xfffd
	s_delay_alu instid0(VALU_DEP_2) | instskip(NEXT) | instid1(VALU_DEP_2)
	v_add_co_ci_u32_e32 v4, vcc_lo, v4, v6, vcc_lo
	v_add_co_u32 v5, vcc_lo, v3, s2
	s_wait_alu 0xfffd
	s_delay_alu instid0(VALU_DEP_2)
	v_add_co_ci_u32_e32 v6, vcc_lo, s3, v4, vcc_lo
	s_clause 0x7
	global_load_b32 v54, v59, s[8:9]
	global_load_b32 v52, v59, s[8:9] offset:264
	global_load_b32 v50, v59, s[8:9] offset:528
	;; [unrolled: 1-line block ×7, first 2 shown]
	global_load_b32 v0, v[3:4], off
	s_clause 0x1
	global_load_b32 v38, v59, s[8:9] offset:2112
	global_load_b32 v35, v59, s[8:9] offset:2376
	global_load_b32 v7, v[5:6], off
	v_add_co_u32 v3, vcc_lo, v5, s2
	s_wait_alu 0xfffd
	v_add_co_ci_u32_e32 v4, vcc_lo, s3, v6, vcc_lo
	global_load_b32 v33, v59, s[8:9] offset:2640
	v_add_co_u32 v5, vcc_lo, v3, s2
	s_wait_alu 0xfffd
	v_add_co_ci_u32_e32 v6, vcc_lo, s3, v4, vcc_lo
	global_load_b32 v8, v[3:4], off
	v_add_co_u32 v3, vcc_lo, v5, s2
	s_wait_alu 0xfffd
	v_add_co_ci_u32_e32 v4, vcc_lo, s3, v6, vcc_lo
	s_clause 0x1
	global_load_b32 v9, v[5:6], off
	global_load_b32 v10, v[3:4], off
	v_add_co_u32 v3, vcc_lo, v3, s2
	s_wait_alu 0xfffd
	v_add_co_ci_u32_e32 v4, vcc_lo, s3, v4, vcc_lo
	s_delay_alu instid0(VALU_DEP_2) | instskip(SKIP_1) | instid1(VALU_DEP_2)
	v_add_co_u32 v5, vcc_lo, v3, s2
	s_wait_alu 0xfffd
	v_add_co_ci_u32_e32 v6, vcc_lo, s3, v4, vcc_lo
	global_load_b32 v11, v[3:4], off
	v_add_co_u32 v3, vcc_lo, v5, s2
	s_wait_alu 0xfffd
	v_add_co_ci_u32_e32 v4, vcc_lo, s3, v6, vcc_lo
	global_load_b32 v12, v[5:6], off
	;; [unrolled: 4-line block ×5, first 2 shown]
	global_load_b32 v5, v[5:6], off
	v_cmp_eq_u32_e32 vcc_lo, 1, v1
	s_load_b128 s[4:7], s[6:7], 0x0
	s_load_b64 s[2:3], s[0:1], 0x38
	v_cndmask_b32_e64 v57, 0, 0xb58, vcc_lo
	v_cmp_gt_u16_e32 vcc_lo, 55, v2
	s_delay_alu instid0(VALU_DEP_2) | instskip(NEXT) | instid1(VALU_DEP_1)
	v_add_nc_u32_e32 v36, v57, v59
	v_add_nc_u32_e32 v3, 0x800, v36
	;; [unrolled: 1-line block ×3, first 2 shown]
	s_wait_loadcnt 0x15
	v_lshrrev_b32_e32 v56, 16, v54
	s_wait_loadcnt 0x14
	v_lshrrev_b32_e32 v55, 16, v52
	;; [unrolled: 2-line block ×9, first 2 shown]
	v_mul_f16_e32 v6, v56, v0
	s_wait_loadcnt 0xc
	v_lshrrev_b32_e32 v39, 16, v38
	s_wait_loadcnt 0xa
	v_lshrrev_b32_e32 v18, 16, v7
	v_mul_f16_e32 v19, v55, v7
	v_mul_f16_e32 v17, v56, v1
	v_fma_f16 v1, v54, v1, -v6
	v_lshrrev_b32_e32 v37, 16, v35
	s_wait_loadcnt 0x9
	v_lshrrev_b32_e32 v34, 16, v33
	v_fmac_f16_e32 v17, v54, v0
	v_mul_f16_e32 v0, v55, v18
	v_fma_f16 v18, v52, v18, -v19
	s_wait_loadcnt 0x8
	v_lshrrev_b32_e32 v6, 16, v8
	v_mul_f16_e32 v19, v53, v8
	v_pack_b32_f16 v1, v17, v1
	v_fmac_f16_e32 v0, v52, v7
	s_delay_alu instid0(VALU_DEP_4)
	v_mul_f16_e32 v7, v53, v6
	s_wait_loadcnt 0x7
	v_lshrrev_b32_e32 v17, 16, v9
	v_fma_f16 v6, v50, v6, -v19
	v_pack_b32_f16 v0, v0, v18
	s_wait_loadcnt 0x6
	v_lshrrev_b32_e32 v18, 16, v10
	v_fmac_f16_e32 v7, v50, v8
	v_mul_f16_e32 v20, v51, v9
	v_mul_f16_e32 v8, v51, v17
	;; [unrolled: 1-line block ×3, first 2 shown]
	ds_store_2addr_b32 v36, v1, v0 offset1:66
	v_pack_b32_f16 v0, v7, v6
	v_mul_f16_e32 v1, v47, v18
	s_wait_loadcnt 0x5
	v_lshrrev_b32_e32 v6, 16, v11
	v_fma_f16 v17, v48, v17, -v20
	v_fmac_f16_e32 v8, v48, v9
	v_mul_f16_e32 v7, v45, v11
	v_fma_f16 v9, v46, v18, -v19
	v_fmac_f16_e32 v1, v46, v10
	v_mul_f16_e32 v10, v45, v6
	v_pack_b32_f16 v8, v8, v17
	v_fma_f16 v6, v44, v6, -v7
	s_wait_loadcnt 0x4
	v_lshrrev_b32_e32 v7, 16, v12
	v_mul_f16_e32 v17, v43, v12
	v_pack_b32_f16 v1, v1, v9
	v_fmac_f16_e32 v10, v44, v11
	s_wait_loadcnt 0x3
	v_lshrrev_b32_e32 v9, 16, v13
	v_mul_f16_e32 v11, v43, v7
	v_fma_f16 v7, v42, v7, -v17
	v_mul_f16_e32 v17, v41, v13
	v_pack_b32_f16 v6, v10, v6
	v_mul_f16_e32 v10, v41, v9
	v_fmac_f16_e32 v11, v42, v12
	s_wait_loadcnt 0x2
	v_lshrrev_b32_e32 v12, 16, v14
	v_fma_f16 v9, v40, v9, -v17
	v_mul_f16_e32 v17, v39, v14
	v_fmac_f16_e32 v10, v40, v13
	s_wait_loadcnt 0x1
	v_lshrrev_b32_e32 v13, 16, v15
	s_wait_loadcnt 0x0
	v_lshrrev_b32_e32 v19, 16, v5
	v_mul_f16_e32 v18, v39, v12
	v_fma_f16 v12, v38, v12, -v17
	v_mul_f16_e32 v17, v37, v15
	v_mul_f16_e32 v20, v37, v13
	;; [unrolled: 1-line block ×4, first 2 shown]
	v_fmac_f16_e32 v18, v38, v14
	v_fma_f16 v13, v35, v13, -v17
	v_fmac_f16_e32 v20, v35, v15
	v_fma_f16 v14, v33, v19, -v21
	v_fmac_f16_e32 v22, v33, v5
	v_pack_b32_f16 v5, v11, v7
	v_pack_b32_f16 v7, v10, v9
	v_pack_b32_f16 v9, v18, v12
	v_pack_b32_f16 v10, v20, v13
	v_pack_b32_f16 v11, v22, v14
	ds_store_2addr_b32 v36, v0, v8 offset0:132 offset1:198
	ds_store_2addr_b32 v4, v1, v6 offset0:8 offset1:74
	;; [unrolled: 1-line block ×4, first 2 shown]
	ds_store_b32 v36, v11 offset:2640
	global_wb scope:SCOPE_SE
	s_wait_dscnt 0x0
	s_wait_kmcnt 0x0
	s_barrier_signal -1
	s_barrier_wait -1
	global_inv scope:SCOPE_SE
	ds_load_2addr_b32 v[0:1], v36 offset1:66
	ds_load_b32 v5, v36 offset:2640
	v_mul_lo_u16 v10, v2, 11
	ds_load_2addr_b32 v[6:7], v36 offset0:132 offset1:198
	ds_load_2addr_b32 v[8:9], v3 offset0:16 offset1:82
	v_add_nc_u32_e32 v15, 0x200, v36
	v_add_nc_u32_e32 v17, 0x600, v36
	v_and_b32_e32 v14, 0xffff, v10
	ds_load_2addr_b32 v[10:11], v4 offset0:8 offset1:74
	ds_load_2addr_b32 v[12:13], v4 offset0:140 offset1:206
	global_wb scope:SCOPE_SE
	s_wait_dscnt 0x0
	s_barrier_signal -1
	s_barrier_wait -1
	v_lshl_add_u32 v58, v14, 2, v57
	global_inv scope:SCOPE_SE
	v_pk_add_f16 v14, v0, v1
	v_pk_add_f16 v18, v5, v1
	v_pk_add_f16 v1, v1, v5 neg_lo:[0,1] neg_hi:[0,1]
	v_pk_add_f16 v21, v9, v6
	v_pk_add_f16 v22, v6, v9 neg_lo:[0,1] neg_hi:[0,1]
	v_pk_add_f16 v6, v14, v6
	v_pk_add_f16 v23, v8, v7
	v_pk_add_f16 v24, v7, v8 neg_lo:[0,1] neg_hi:[0,1]
	v_pk_add_f16 v25, v13, v10
	v_pk_add_f16 v26, v10, v13 neg_lo:[0,1] neg_hi:[0,1]
	;; [unrolled: 2-line block ×3, first 2 shown]
	v_lshrrev_b32_e32 v14, 16, v1
	v_pk_mul_f16 v29, 0x3abb36a6, v18
	v_pk_mul_f16 v79, 0xbbad, v18 op_sel_hi:[0,1]
	v_pk_add_f16 v6, v6, v7
	v_lshrrev_b32_e32 v30, 16, v18
	v_mul_f16_e32 v31, 0xbb47, v1
	v_mul_f16_e32 v32, 0xbbeb, v1
	;; [unrolled: 1-line block ×3, first 2 shown]
	v_lshrrev_b32_e32 v61, 16, v22
	v_pk_mul_f16 v62, 0x36a6b93d, v21
	v_lshrrev_b32_e32 v63, 16, v21
	v_mul_f16_e32 v64, 0xba0c, v22
	v_mul_f16_e32 v65, 0x3482, v22
	v_mul_f16_e32 v66, 0x3beb, v22
	v_lshrrev_b32_e32 v67, 16, v23
	v_mul_f16_e32 v68, 0x3482, v24
	v_mul_f16_e32 v69, 0x3b47, v24
	v_mul_f16_e32 v70, 0xb853, v24
	;; [unrolled: 4-line block ×4, first 2 shown]
	v_pk_mul_f16 v80, 0x3abb, v21 op_sel_hi:[0,1]
	v_pk_mul_f16 v81, 0xb08ebbad, v23
	v_pk_mul_f16 v82, 0xb93d, v23 op_sel_hi:[0,1]
	v_lshrrev_b32_e32 v83, 16, v24
	v_pk_mul_f16 v84, 0xb93db08e, v25
	v_pk_mul_f16 v85, 0x36a6, v25 op_sel_hi:[0,1]
	v_lshrrev_b32_e32 v86, 16, v26
	;; [unrolled: 3-line block ×3, first 2 shown]
	v_mul_f16_e32 v7, 0xb853, v14
	v_pk_fma_f16 v90, 0xbb47b853, v1, v29 op_sel:[0,0,1] op_sel_hi:[1,1,0] neg_lo:[0,1,0] neg_hi:[0,1,0]
	v_pk_fma_f16 v29, 0xbb47b853, v1, v29 op_sel:[0,0,1] op_sel_hi:[1,1,0]
	v_mul_f16_e32 v92, 0xbbeb, v14
	v_mul_f16_e32 v14, 0xba0c, v14
	v_pk_fma_f16 v100, 0xb482, v1, v79 op_sel:[0,0,1] op_sel_hi:[0,1,0] neg_lo:[0,1,0] neg_hi:[0,1,0]
	v_pk_add_f16 v6, v6, v10
	v_lshrrev_b32_e32 v20, 16, v0
	v_fmamk_f16 v91, v30, 0x36a6, v31
	v_fma_f16 v31, v30, 0x36a6, -v31
	v_fmamk_f16 v93, v30, 0xb08e, v32
	v_fma_f16 v32, v30, 0xb08e, -v32
	;; [unrolled: 2-line block ×3, first 2 shown]
	v_pk_fma_f16 v60, 0xba0cbb47, v22, v62 op_sel:[0,0,1] op_sel_hi:[1,1,0] neg_lo:[0,1,0] neg_hi:[0,1,0]
	v_pk_fma_f16 v62, 0xba0cbb47, v22, v62 op_sel:[0,0,1] op_sel_hi:[1,1,0]
	v_fmamk_f16 v95, v63, 0xb93d, v64
	v_fma_f16 v64, v63, 0xb93d, -v64
	v_fmamk_f16 v96, v63, 0xbbad, v65
	v_fma_f16 v65, v63, 0xbbad, -v65
	;; [unrolled: 2-line block ×7, first 2 shown]
	v_pk_fma_f16 v1, 0xb482, v1, v79 op_sel:[0,0,1] op_sel_hi:[0,1,0]
	v_fmamk_f16 v79, v71, 0x3abb, v73
	v_fma_f16 v73, v71, 0x3abb, -v73
	v_fmamk_f16 v101, v71, 0xbbad, v74
	v_fma_f16 v71, v71, 0xbbad, -v74
	v_fmamk_f16 v74, v75, 0x3abb, v76
	v_fma_f16 v76, v75, 0x3abb, -v76
	v_fmamk_f16 v102, v75, 0xb93d, v77
	v_fma_f16 v77, v75, 0xb93d, -v77
	v_fmamk_f16 v103, v75, 0x36a6, v78
	v_fma_f16 v75, v75, 0x36a6, -v78
	v_pk_fma_f16 v78, 0x3853, v22, v80 op_sel:[0,0,1] op_sel_hi:[0,1,0] neg_lo:[0,1,0] neg_hi:[0,1,0]
	v_pk_fma_f16 v22, 0x3853, v22, v80 op_sel:[0,0,1] op_sel_hi:[0,1,0]
	v_mul_f16_e32 v80, 0xbb47, v61
	v_mul_f16_e32 v104, 0x3482, v61
	v_mul_f16_e32 v61, 0x3beb, v61
	v_pk_fma_f16 v105, 0x3482bbeb, v24, v81 op_sel:[0,0,1] op_sel_hi:[1,1,0] neg_lo:[0,1,0] neg_hi:[0,1,0]
	v_pk_fma_f16 v81, 0x3482bbeb, v24, v81 op_sel:[0,0,1] op_sel_hi:[1,1,0]
	v_pk_fma_f16 v106, 0xba0c, v24, v82 op_sel:[0,0,1] op_sel_hi:[0,1,0] neg_lo:[0,1,0] neg_hi:[0,1,0]
	v_pk_fma_f16 v24, 0xba0c, v24, v82 op_sel:[0,0,1] op_sel_hi:[0,1,0]
	v_mul_f16_e32 v82, 0xbbeb, v83
	v_mul_f16_e32 v107, 0x3b47, v83
	v_mul_f16_e32 v83, 0xb853, v83
	v_pk_fma_f16 v108, 0x3bebba0c, v26, v84 op_sel:[0,0,1] op_sel_hi:[1,1,0] neg_lo:[0,1,0] neg_hi:[0,1,0]
	v_pk_fma_f16 v84, 0x3bebba0c, v26, v84 op_sel:[0,0,1] op_sel_hi:[1,1,0]
	v_pk_fma_f16 v109, 0x3b47, v26, v85 op_sel:[0,0,1] op_sel_hi:[0,1,0] neg_lo:[0,1,0] neg_hi:[0,1,0]
	v_pk_fma_f16 v26, 0x3b47, v26, v85 op_sel:[0,0,1] op_sel_hi:[0,1,0]
	v_mul_f16_e32 v85, 0xba0c, v86
	v_mul_f16_e32 v110, 0xb853, v86
	v_mul_f16_e32 v86, 0xb482, v86
	v_pk_fma_f16 v111, 0x3853b482, v28, v87 op_sel:[0,0,1] op_sel_hi:[1,1,0] neg_lo:[0,1,0] neg_hi:[0,1,0]
	v_pk_fma_f16 v87, 0x3853b482, v28, v87 op_sel:[0,0,1] op_sel_hi:[1,1,0]
	v_pk_fma_f16 v112, 0xbbeb, v28, v88 op_sel:[0,0,1] op_sel_hi:[0,1,0] neg_lo:[0,1,0] neg_hi:[0,1,0]
	v_pk_fma_f16 v28, 0xbbeb, v28, v88 op_sel:[0,0,1] op_sel_hi:[0,1,0]
	v_mul_f16_e32 v88, 0xb482, v89
	v_mul_f16_e32 v113, 0xba0c, v89
	v_mul_f16_e32 v89, 0x3b47, v89
	v_fma_f16 v10, v18, 0x3abb, -v7
	v_fmac_f16_e32 v7, 0x3abb, v18
	v_bfi_b32 v114, 0xffff, v29, v90
	v_fma_f16 v115, v18, 0xb08e, -v92
	v_fma_f16 v116, v18, 0xb93d, -v14
	v_alignbit_b32 v19, s0, v0, 16
	v_fmac_f16_e32 v92, 0xb08e, v18
	v_fmac_f16_e32 v14, 0xb93d, v18
	v_lshrrev_b32_e32 v18, 16, v29
	v_alignbit_b32 v29, s0, v100, 16
	v_pk_add_f16 v6, v6, v11
	v_fma_f16 v117, v21, 0x36a6, -v80
	v_fmac_f16_e32 v80, 0x36a6, v21
	v_fma_f16 v118, v21, 0xbbad, -v104
	v_fmac_f16_e32 v104, 0xbbad, v21
	;; [unrolled: 2-line block ×9, first 2 shown]
	v_add_f16_e32 v25, v20, v91
	v_add_f16_e32 v31, v20, v31
	;; [unrolled: 1-line block ×7, first 2 shown]
	v_fma_f16 v90, v27, 0xbbad, -v88
	v_fmac_f16_e32 v88, 0xbbad, v27
	v_fma_f16 v94, v27, 0xb93d, -v113
	v_fmac_f16_e32 v113, 0xb93d, v27
	v_fma_f16 v124, v27, 0x36a6, -v89
	v_fmac_f16_e32 v89, 0x36a6, v27
	v_bfi_b32 v27, 0xffff, v62, v60
	v_add_f16_e32 v10, v0, v10
	v_add_f16_e32 v7, v0, v7
	v_pk_add_f16 v11, v0, v114 op_sel:[1,0] op_sel_hi:[0,1]
	v_add_f16_e32 v114, v0, v115
	v_add_f16_e32 v115, v0, v116
	v_pk_add_f16 v1, v0, v1 op_sel:[1,0] op_sel_hi:[0,1]
	v_pk_add_f16 v19, v19, v100
	v_alignbit_b32 v100, s0, v78, 16
	v_add_f16_e32 v92, v0, v92
	v_add_f16_e32 v14, v0, v14
	;; [unrolled: 1-line block ×3, first 2 shown]
	v_pk_add_f16 v0, v0, v29
	v_lshrrev_b32_e32 v62, 16, v62
	v_pk_add_f16 v6, v6, v12
	v_bfi_b32 v125, 0xffff, v81, v105
	v_add_f16_e32 v25, v95, v25
	v_add_f16_e32 v20, v60, v20
	;; [unrolled: 1-line block ×4, first 2 shown]
	v_pk_add_f16 v11, v27, v11
	v_add_f16_e32 v29, v64, v31
	v_add_f16_e32 v31, v96, v91
	;; [unrolled: 1-line block ×5, first 2 shown]
	v_alignbit_b32 v128, s0, v106, 16
	v_pk_add_f16 v1, v22, v1
	v_pk_add_f16 v19, v78, v19
	;; [unrolled: 1-line block ×3, first 2 shown]
	v_add_f16_e32 v32, v65, v32
	v_add_f16_e32 v30, v63, v30
	;; [unrolled: 1-line block ×4, first 2 shown]
	v_lshrrev_b32_e32 v81, 16, v81
	v_add_f16_e32 v18, v62, v18
	v_pk_add_f16 v6, v6, v13
	v_bfi_b32 v126, 0xffff, v84, v108
	v_add_f16_e32 v25, v66, v25
	v_add_f16_e32 v20, v105, v20
	;; [unrolled: 1-line block ×4, first 2 shown]
	v_pk_add_f16 v11, v125, v11
	v_add_f16_e32 v31, v98, v31
	v_add_f16_e32 v60, v99, v64
	;; [unrolled: 1-line block ×4, first 2 shown]
	v_alignbit_b32 v129, s0, v109, 16
	v_pk_add_f16 v1, v24, v1
	v_pk_add_f16 v19, v106, v19
	v_pk_add_f16 v0, v128, v0
	v_add_f16_e32 v29, v68, v29
	v_add_f16_e32 v32, v69, v32
	;; [unrolled: 1-line block ×5, first 2 shown]
	v_lshrrev_b32_e32 v84, 16, v84
	v_add_f16_e32 v18, v81, v18
	v_pk_add_f16 v6, v6, v8
	v_bfi_b32 v127, 0xffff, v87, v111
	v_add_f16_e32 v22, v70, v25
	v_add_f16_e32 v20, v108, v20
	;; [unrolled: 1-line block ×4, first 2 shown]
	v_pk_add_f16 v10, v126, v11
	v_add_f16_e32 v27, v79, v31
	v_add_f16_e32 v31, v101, v60
	;; [unrolled: 1-line block ×4, first 2 shown]
	v_alignbit_b32 v130, s0, v112, 16
	v_pk_add_f16 v1, v26, v1
	v_pk_add_f16 v19, v109, v19
	;; [unrolled: 1-line block ×3, first 2 shown]
	v_add_f16_e32 v25, v72, v29
	v_add_f16_e32 v29, v73, v32
	v_add_f16_e32 v30, v71, v30
	v_add_f16_e32 v12, v110, v13
	v_add_f16_e32 v32, v86, v14
	v_lshrrev_b32_e32 v87, 16, v87
	v_add_f16_e32 v13, v84, v18
	v_pk_add_f16 v6, v6, v9
	v_add_f16_e32 v24, v111, v20
	v_add_f16_e32 v20, v74, v22
	;; [unrolled: 1-line block ×4, first 2 shown]
	v_pk_add_f16 v7, v127, v10
	v_add_f16_e32 v18, v102, v27
	v_add_f16_e32 v22, v103, v31
	;; [unrolled: 1-line block ×4, first 2 shown]
	v_pk_add_f16 v1, v28, v1
	v_pk_add_f16 v23, v112, v19
	;; [unrolled: 1-line block ×3, first 2 shown]
	v_add_f16_e32 v26, v77, v29
	v_add_f16_e32 v27, v75, v30
	v_add_f16_e32 v12, v113, v12
	v_add_f16_e32 v9, v89, v32
	v_add_f16_e32 v25, v76, v25
	v_add_f16_e32 v13, v87, v13
	v_pk_add_f16 v5, v6, v5
	v_alignbit_b32 v6, v20, v7, 16
	v_pack_b32_f16 v7, v8, v7
	v_pack_b32_f16 v8, v11, v22
	;; [unrolled: 1-line block ×3, first 2 shown]
	v_alignbit_b32 v19, v23, v1, 16
	v_pack_b32_f16 v0, v0, v1
	v_pack_b32_f16 v11, v12, v26
	;; [unrolled: 1-line block ×5, first 2 shown]
	ds_store_b32 v58, v5
	ds_store_2addr_b32 v58, v7, v6 offset0:1 offset1:2
	ds_store_2addr_b32 v58, v10, v8 offset0:3 offset1:4
	;; [unrolled: 1-line block ×5, first 2 shown]
	global_wb scope:SCOPE_SE
	s_wait_dscnt 0x0
	s_barrier_signal -1
	s_barrier_wait -1
	global_inv scope:SCOPE_SE
	ds_load_2addr_b32 v[10:11], v36 offset1:121
	ds_load_2addr_b32 v[19:20], v15 offset0:114 offset1:235
	ds_load_2addr_b32 v[17:18], v17 offset0:100 offset1:221
	v_add_co_u32 v21, s0, s8, v59
	s_wait_alu 0xf1ff
	v_add_co_ci_u32_e64 v22, null, s9, 0, s0
	v_lshrrev_b32_e32 v8, 16, v1
                                        ; implicit-def: $vgpr28
	s_and_saveexec_b32 s0, vcc_lo
	s_cbranch_execz .LBB0_3
; %bb.2:
	ds_load_2addr_b32 v[8:9], v36 offset0:66 offset1:187
	ds_load_2addr_b32 v[12:13], v4 offset0:52 offset1:173
	;; [unrolled: 1-line block ×3, first 2 shown]
	s_wait_dscnt 0x2
	v_lshrrev_b32_e32 v23, 16, v8
	v_lshrrev_b32_e32 v27, 16, v9
	s_wait_dscnt 0x1
	v_lshrrev_b32_e32 v26, 16, v12
	v_lshrrev_b32_e32 v25, 16, v13
	;; [unrolled: 3-line block ×3, first 2 shown]
.LBB0_3:
	s_wait_alu 0xfffe
	s_or_b32 exec_lo, exec_lo, s0
	v_and_b32_e32 v0, 0xff, v49
	v_add_nc_u16 v2, v49, 0x42
	s_wait_dscnt 0x1
	v_lshrrev_b32_e32 v76, 16, v20
	s_wait_dscnt 0x0
	v_lshrrev_b32_e32 v77, 16, v17
	v_lshrrev_b32_e32 v78, 16, v18
	v_mul_lo_u16 v0, 0x75, v0
	v_and_b32_e32 v1, 0xff, v2
	v_lshrrev_b32_e32 v70, 16, v10
	s_delay_alu instid0(VALU_DEP_3) | instskip(NEXT) | instid1(VALU_DEP_3)
	v_lshrrev_b16 v0, 8, v0
	v_mul_lo_u16 v1, 0x75, v1
	s_delay_alu instid0(VALU_DEP_2) | instskip(NEXT) | instid1(VALU_DEP_2)
	v_sub_nc_u16 v3, v49, v0
	v_lshrrev_b16 v1, 8, v1
	s_delay_alu instid0(VALU_DEP_2) | instskip(NEXT) | instid1(VALU_DEP_2)
	v_lshrrev_b16 v3, 1, v3
	v_sub_nc_u16 v4, v2, v1
	s_delay_alu instid0(VALU_DEP_2) | instskip(NEXT) | instid1(VALU_DEP_1)
	v_and_b32_e32 v3, 0x7f, v3
	v_add_nc_u16 v0, v3, v0
	s_delay_alu instid0(VALU_DEP_3) | instskip(NEXT) | instid1(VALU_DEP_2)
	v_lshrrev_b16 v3, 1, v4
	v_lshrrev_b16 v31, 3, v0
	s_delay_alu instid0(VALU_DEP_2) | instskip(NEXT) | instid1(VALU_DEP_2)
	v_and_b32_e32 v0, 0x7f, v3
	v_mul_lo_u16 v3, v31, 11
	s_delay_alu instid0(VALU_DEP_2) | instskip(NEXT) | instid1(VALU_DEP_2)
	v_add_nc_u16 v0, v0, v1
	v_sub_nc_u16 v1, v49, v3
	s_delay_alu instid0(VALU_DEP_2) | instskip(NEXT) | instid1(VALU_DEP_2)
	v_lshrrev_b16 v32, 3, v0
	v_and_b32_e32 v62, 0xff, v1
	s_delay_alu instid0(VALU_DEP_2) | instskip(NEXT) | instid1(VALU_DEP_2)
	v_mul_lo_u16 v3, v32, 11
	v_mad_co_u64_u32 v[0:1], null, v62, 20, s[10:11]
	s_delay_alu instid0(VALU_DEP_2) | instskip(NEXT) | instid1(VALU_DEP_1)
	v_sub_nc_u16 v2, v2, v3
	v_and_b32_e32 v60, 0xff, v2
	s_clause 0x1
	global_load_b128 v[4:7], v[0:1], off
	global_load_b32 v63, v[0:1], off offset:16
	v_mad_co_u64_u32 v[29:30], null, v60, 20, s[10:11]
	s_clause 0x1
	global_load_b128 v[0:3], v[29:30], off
	global_load_b32 v61, v[29:30], off offset:16
	v_and_b32_e32 v29, 0xffff, v31
	v_lshrrev_b32_e32 v30, 16, v11
	v_lshrrev_b32_e32 v31, 16, v19
	global_wb scope:SCOPE_SE
	s_wait_loadcnt 0x0
	s_barrier_signal -1
	v_mul_u32_u24_e32 v29, 0x42, v29
	s_barrier_wait -1
	global_inv scope:SCOPE_SE
	v_add_nc_u32_e32 v29, v29, v62
	v_and_b32_e32 v62, 0xffff, v32
	s_delay_alu instid0(VALU_DEP_2)
	v_lshl_add_u32 v69, v29, 2, v57
	v_lshrrev_b32_e32 v75, 16, v4
	v_lshrrev_b32_e32 v74, 16, v5
	;; [unrolled: 1-line block ×5, first 2 shown]
	v_mul_f16_e32 v29, v30, v75
	v_mul_f16_e32 v80, v11, v75
	;; [unrolled: 1-line block ×10, first 2 shown]
	v_lshrrev_b32_e32 v66, 16, v0
	v_lshrrev_b32_e32 v64, 16, v1
	v_lshrrev_b32_e32 v68, 16, v2
	v_lshrrev_b32_e32 v65, 16, v3
	v_lshrrev_b32_e32 v67, 16, v61
	v_fma_f16 v87, v11, v4, -v29
	v_fmac_f16_e32 v80, v30, v4
	v_fma_f16 v32, v19, v5, -v32
	v_fmac_f16_e32 v79, v31, v5
	;; [unrolled: 2-line block ×5, first 2 shown]
	v_mul_f16_e32 v11, v27, v66
	v_mul_f16_e32 v17, v26, v64
	;; [unrolled: 1-line block ×10, first 2 shown]
	v_fma_f16 v11, v9, v0, -v11
	v_fma_f16 v17, v12, v1, -v17
	v_fmac_f16_e32 v30, v26, v1
	v_fma_f16 v13, v13, v2, -v78
	v_fmac_f16_e32 v31, v25, v2
	v_fma_f16 v12, v14, v3, -v81
	v_fma_f16 v9, v15, v61, -v83
	v_fmac_f16_e32 v29, v28, v61
	v_add_f16_e32 v15, v32, v76
	v_add_f16_e32 v26, v79, v84
	;; [unrolled: 1-line block ×4, first 2 shown]
	v_fmac_f16_e32 v19, v27, v0
	v_fmac_f16_e32 v18, v24, v3
	v_add_f16_e32 v14, v10, v32
	v_sub_f16_e32 v24, v79, v84
	v_add_f16_e32 v25, v70, v79
	v_sub_f16_e32 v78, v32, v76
	;; [unrolled: 2-line block ×4, first 2 shown]
	v_fmac_f16_e32 v10, -0.5, v15
	v_fmac_f16_e32 v70, -0.5, v26
	;; [unrolled: 1-line block ×4, first 2 shown]
	v_add_f16_e32 v82, v13, v9
	v_add_f16_e32 v83, v31, v29
	;; [unrolled: 1-line block ×8, first 2 shown]
	v_sub_f16_e32 v32, v31, v29
	v_sub_f16_e32 v76, v13, v9
	v_fmamk_f16 v84, v24, 0x3aee, v10
	v_fmac_f16_e32 v10, 0xbaee, v24
	v_fmamk_f16 v85, v78, 0xbaee, v70
	v_fmac_f16_e32 v70, 0x3aee, v78
	;; [unrolled: 2-line block ×4, first 2 shown]
	v_fma_f16 v78, -0.5, v82, v11
	v_fma_f16 v79, -0.5, v83, v19
	v_add_f16_e32 v20, v14, v25
	v_add_f16_e32 v88, v15, v26
	v_sub_f16_e32 v25, v14, v25
	v_sub_f16_e32 v89, v15, v26
	v_fma_f16 v26, -0.5, v77, v8
	v_fma_f16 v77, -0.5, v81, v23
	v_mul_f16_e32 v81, 0x3aee, v86
	v_mul_f16_e32 v82, -0.5, v87
	v_mul_f16_e32 v83, 0xbaee, v24
	v_mul_f16_e32 v90, -0.5, v80
	v_fmamk_f16 v91, v32, 0xbaee, v78
	v_fmamk_f16 v92, v76, 0x3aee, v79
	v_sub_f16_e32 v27, v30, v18
	v_sub_f16_e32 v28, v17, v12
	v_pack_b32_f16 v89, v25, v89
	v_fmac_f16_e32 v81, 0.5, v24
	v_fmac_f16_e32 v82, 0x3aee, v80
	v_fmac_f16_e32 v83, 0.5, v86
	v_fmac_f16_e32 v90, 0xbaee, v87
	v_mul_f16_e32 v24, -0.5, v91
	v_mul_f16_e32 v25, -0.5, v92
	v_fmamk_f16 v14, v27, 0xbaee, v26
	v_fmamk_f16 v15, v28, 0x3aee, v77
	v_add_f16_e32 v80, v84, v81
	v_add_f16_e32 v86, v10, v82
	;; [unrolled: 1-line block ×4, first 2 shown]
	v_fmac_f16_e32 v24, 0x3aee, v92
	v_sub_f16_e32 v10, v10, v82
	v_sub_f16_e32 v70, v70, v90
	v_fmac_f16_e32 v25, 0xbaee, v91
	v_sub_f16_e32 v81, v84, v81
	v_sub_f16_e32 v82, v85, v83
	v_pack_b32_f16 v88, v20, v88
	v_sub_f16_e32 v20, v14, v24
	v_pack_b32_f16 v80, v80, v87
	v_pack_b32_f16 v10, v10, v70
	v_sub_f16_e32 v70, v15, v25
	v_pack_b32_f16 v83, v86, v93
	v_pack_b32_f16 v81, v81, v82
	ds_store_2addr_b32 v69, v88, v80 offset1:11
	ds_store_2addr_b32 v69, v83, v89 offset0:22 offset1:33
	ds_store_2addr_b32 v69, v81, v10 offset0:44 offset1:55
	s_and_saveexec_b32 s0, vcc_lo
	s_cbranch_execz .LBB0_5
; %bb.4:
	v_mul_f16_e32 v10, 0x3aee, v32
	v_mul_f16_e32 v32, 0x3aee, v76
	v_add_f16_e32 v19, v19, v31
	v_mul_f16_e32 v27, 0x3aee, v27
	v_mul_f16_e32 v28, 0x3aee, v28
	v_add_f16_e32 v10, v10, v78
	v_sub_f16_e32 v32, v79, v32
	v_add_f16_e32 v23, v23, v30
	v_add_f16_e32 v8, v8, v17
	v_sub_f16_e32 v28, v77, v28
	v_mul_f16_e32 v30, 0x3aee, v10
	v_mul_f16_e32 v31, 0x3aee, v32
	v_add_f16_e32 v18, v23, v18
	v_add_f16_e32 v19, v19, v29
	;; [unrolled: 1-line block ×3, first 2 shown]
	v_fma_f16 v26, v32, 0.5, -v30
	v_fmac_f16_e32 v31, 0.5, v10
	v_add_f16_e32 v10, v11, v13
	v_add_f16_e32 v8, v8, v12
	v_mul_u32_u24_e32 v12, 0x42, v62
	v_sub_f16_e32 v11, v18, v19
	v_sub_f16_e32 v17, v23, v31
	v_add_f16_e32 v9, v10, v9
	v_add_f16_e32 v10, v15, v25
	;; [unrolled: 1-line block ×4, first 2 shown]
	v_add_nc_u32_e32 v12, v12, v60
	v_add_f16_e32 v19, v8, v9
	v_add_f16_e32 v23, v23, v31
	;; [unrolled: 1-line block ×3, first 2 shown]
	v_sub_f16_e32 v8, v8, v9
	v_sub_f16_e32 v13, v28, v26
	v_lshl_add_u32 v9, v12, 2, v57
	v_pack_b32_f16 v12, v19, v18
	v_pack_b32_f16 v15, v23, v15
	;; [unrolled: 1-line block ×5, first 2 shown]
	v_perm_b32 v13, v70, v20, 0x5040100
	ds_store_2addr_b32 v9, v12, v15 offset1:11
	ds_store_2addr_b32 v9, v10, v8 offset0:22 offset1:33
	ds_store_2addr_b32 v9, v11, v13 offset0:44 offset1:55
.LBB0_5:
	s_wait_alu 0xfffe
	s_or_b32 exec_lo, exec_lo, s0
	v_mad_co_u64_u32 v[17:18], null, v49, 40, s[10:11]
	global_wb scope:SCOPE_SE
	s_wait_dscnt 0x0
	s_barrier_signal -1
	s_barrier_wait -1
	global_inv scope:SCOPE_SE
	v_add_nc_u32_e32 v77, 0x400, v36
	v_add_nc_u32_e32 v76, 0x800, v36
	s_clause 0x2
	global_load_b128 v[12:15], v[17:18], off offset:220
	global_load_b128 v[8:11], v[17:18], off offset:236
	global_load_b64 v[17:18], v[17:18], off offset:252
	ds_load_2addr_b32 v[23:24], v36 offset1:66
	ds_load_2addr_b32 v[31:32], v36 offset0:132 offset1:198
	ds_load_b32 v19, v36 offset:2640
	ds_load_2addr_b32 v[29:30], v77 offset0:8 offset1:74
	ds_load_2addr_b32 v[27:28], v77 offset0:140 offset1:206
	;; [unrolled: 1-line block ×3, first 2 shown]
	s_add_nc_u64 s[0:1], s[8:9], 0xb58
	s_wait_dscnt 0x3
	v_lshrrev_b32_e32 v92, 16, v19
	v_lshrrev_b32_e32 v89, 16, v24
	;; [unrolled: 1-line block ×3, first 2 shown]
	s_wait_dscnt 0x0
	v_lshrrev_b32_e32 v98, 16, v26
	v_lshrrev_b32_e32 v88, 16, v23
	;; [unrolled: 1-line block ×8, first 2 shown]
	s_wait_loadcnt 0x2
	v_lshrrev_b32_e32 v86, 16, v12
	v_lshrrev_b32_e32 v87, 16, v13
	s_wait_loadcnt 0x0
	v_lshrrev_b32_e32 v78, 16, v17
	v_lshrrev_b32_e32 v85, 16, v14
	;; [unrolled: 1-line block ×3, first 2 shown]
	v_mul_f16_e32 v99, v89, v86
	v_mul_f16_e32 v100, v24, v86
	v_lshrrev_b32_e32 v81, 16, v10
	v_lshrrev_b32_e32 v80, 16, v11
	;; [unrolled: 1-line block ×3, first 2 shown]
	v_mul_f16_e32 v101, v90, v87
	v_mul_f16_e32 v102, v31, v87
	;; [unrolled: 1-line block ×3, first 2 shown]
	v_fma_f16 v24, v24, v12, -v99
	v_fmac_f16_e32 v100, v89, v12
	v_lshrrev_b32_e32 v84, 16, v15
	v_mul_f16_e32 v103, v91, v85
	v_mul_f16_e32 v104, v32, v85
	;; [unrolled: 1-line block ×8, first 2 shown]
	v_fma_f16 v31, v31, v13, -v101
	v_fmac_f16_e32 v102, v90, v13
	v_fma_f16 v26, v26, v17, -v115
	v_add_f16_e32 v89, v23, v24
	v_add_f16_e32 v90, v88, v100
	v_lshrrev_b32_e32 v82, 16, v9
	v_mul_f16_e32 v105, v93, v84
	v_mul_f16_e32 v106, v29, v84
	;; [unrolled: 1-line block ×5, first 2 shown]
	v_fma_f16 v32, v32, v14, -v103
	v_fmac_f16_e32 v104, v91, v14
	v_fmac_f16_e32 v108, v94, v8
	;; [unrolled: 1-line block ×3, first 2 shown]
	v_fma_f16 v25, v25, v11, -v113
	v_fma_f16 v19, v19, v18, -v117
	v_fmac_f16_e32 v118, v92, v18
	v_add_f16_e32 v94, v31, v26
	v_sub_f16_e32 v96, v31, v26
	v_add_f16_e32 v31, v89, v31
	v_add_f16_e32 v89, v90, v102
	v_mul_f16_e32 v109, v95, v82
	v_mul_f16_e32 v110, v27, v82
	v_fma_f16 v29, v29, v15, -v105
	v_fmac_f16_e32 v106, v93, v15
	v_fma_f16 v28, v28, v10, -v111
	v_fmac_f16_e32 v116, v98, v17
	v_add_f16_e32 v91, v24, v19
	v_add_f16_e32 v92, v100, v118
	v_sub_f16_e32 v24, v24, v19
	v_sub_f16_e32 v93, v100, v118
	v_add_f16_e32 v98, v32, v25
	v_sub_f16_e32 v100, v32, v25
	v_add_f16_e32 v31, v31, v32
	v_add_f16_e32 v32, v89, v104
	v_fma_f16 v30, v30, v8, -v107
	v_fma_f16 v27, v27, v9, -v109
	v_fmac_f16_e32 v110, v95, v9
	v_fmac_f16_e32 v114, v97, v11
	v_add_f16_e32 v95, v102, v116
	v_sub_f16_e32 v97, v102, v116
	v_add_f16_e32 v103, v29, v28
	v_sub_f16_e32 v107, v29, v28
	v_mul_f16_e32 v90, 0xb853, v93
	v_mul_f16_e32 v102, 0xb853, v24
	v_add_f16_e32 v29, v31, v29
	v_add_f16_e32 v31, v32, v106
	v_sub_f16_e32 v101, v104, v114
	v_sub_f16_e32 v105, v106, v112
	v_sub_f16_e32 v111, v108, v110
	v_sub_f16_e32 v115, v30, v27
	v_mul_f16_e32 v119, 0xbb47, v93
	v_mul_f16_e32 v120, 0xbb47, v24
	;; [unrolled: 1-line block ×8, first 2 shown]
	v_add_f16_e32 v99, v104, v114
	v_add_f16_e32 v113, v30, v27
	v_mul_f16_e32 v125, 0xbb47, v97
	v_mul_f16_e32 v126, 0xbb47, v96
	v_fma_f16 v89, v91, 0x3abb, -v90
	v_fmamk_f16 v104, v92, 0x3abb, v102
	v_add_f16_e32 v29, v29, v30
	v_add_f16_e32 v30, v31, v108
	;; [unrolled: 1-line block ×4, first 2 shown]
	v_mul_f16_e32 v127, 0xba0c, v97
	v_mul_f16_e64 v128, 0xba0c, v96
	v_mul_f16_e64 v129, 0x3482, v97
	;; [unrolled: 1-line block ×5, first 2 shown]
	v_mul_f16_e32 v97, 0x3853, v97
	v_mul_f16_e32 v96, 0x3853, v96
	v_mul_f16_e64 v133, 0xbbeb, v101
	v_mul_f16_e64 v134, 0xbbeb, v100
	;; [unrolled: 1-line block ×8, first 2 shown]
	v_mul_f16_e32 v101, 0xba0c, v101
	v_mul_f16_e32 v100, 0xba0c, v100
	v_mul_f16_e64 v141, 0xba0c, v105
	v_mul_f16_e64 v142, 0x3beb, v105
	v_mul_f16_e64 v143, 0xb853, v105
	v_mul_f16_e64 v144, 0xb482, v105
	v_mul_f16_e32 v105, 0x3b47, v105
	v_mul_f16_e64 v145, 0xba0c, v107
	v_mul_f16_e64 v146, 0x3beb, v107
	v_mul_f16_e64 v147, 0xb853, v107
	v_mul_f16_e64 v148, 0xb482, v107
	v_mul_f16_e32 v107, 0x3b47, v107
	v_mul_f16_e64 v149, 0xb482, v111
	v_mul_f16_e64 v150, 0x3853, v111
	v_mul_f16_e64 v151, 0xba0c, v111
	v_mul_f16_e64 v152, 0x3b47, v111
	v_mul_f16_e32 v111, 0xbbeb, v111
	v_mul_f16_e64 v153, 0xb482, v115
	v_mul_f16_e64 v154, 0x3853, v115
	v_mul_f16_e64 v155, 0xba0c, v115
	v_mul_f16_e64 v156, 0x3b47, v115
	v_mul_f16_e32 v115, 0xbbeb, v115
	v_fmac_f16_e32 v90, 0x3abb, v91
	v_fma_f16 v102, v92, 0x3abb, -v102
	v_fma_f16 v157, v91, 0x36a6, -v119
	v_fma_f16 v158, 0x36a6, v92, v120
	v_fmac_f16_e32 v119, 0x36a6, v91
	v_fma_f16 v120, v92, 0x36a6, -v120
	v_fma_f16 v159, v91, 0xb08e, -v121
	v_fma_f16 v160, 0xb08e, v92, v122
	v_fmac_f16_e32 v121, 0xb08e, v91
	v_fma_f16 v161, v91, 0xb93d, -v123
	v_fmac_f16_e32 v123, 0xb93d, v91
	v_fma_f16 v163, v91, 0xbbad, -v93
	;; [unrolled: 2-line block ×3, first 2 shown]
	v_fma_f16 v162, 0xb93d, v92, v124
	v_fma_f16 v124, v92, 0xb93d, -v124
	v_fma_f16 v164, 0xbbad, v92, v24
	v_fma_f16 v24, v92, 0xbbad, -v24
	v_fma_f16 v91, v94, 0x36a6, -v125
	v_fmamk_f16 v92, v95, 0x36a6, v126
	v_add_f16_e32 v89, v23, v89
	v_add_f16_e32 v32, v88, v104
	v_add_f16_e32 v27, v29, v27
	v_add_f16_e32 v29, v30, v110
	v_fmac_f16_e32 v125, 0x36a6, v94
	v_fma_f16 v126, v95, 0x36a6, -v126
	v_fma_f16 v165, v94, 0xb93d, -v127
	v_fma_f16 v166, 0xb93d, v95, v128
	v_fmac_f16_e32 v127, 0xb93d, v94
	v_fma_f16 v128, v95, 0xb93d, -v128
	v_fma_f16 v167, v94, 0xbbad, -v129
	v_fma_f16 v168, 0xbbad, v95, v130
	v_fmac_f16_e64 v129, 0xbbad, v94
	v_fma_f16 v130, v95, 0xbbad, -v130
	v_fma_f16 v169, v94, 0xb08e, -v131
	v_fma_f16 v170, 0xb08e, v95, v132
	v_fmac_f16_e64 v131, 0xb08e, v94
	v_fma_f16 v132, v95, 0xb08e, -v132
	v_fma_f16 v171, v94, 0x3abb, -v97
	v_fma_f16 v172, 0x3abb, v95, v96
	v_fmac_f16_e32 v97, 0x3abb, v94
	v_fma_f16 v94, v95, 0x3abb, -v96
	v_fma_f16 v95, v98, 0xb08e, -v133
	v_fma_f16 v96, 0xb08e, v99, v134
	v_fmac_f16_e64 v133, 0xb08e, v98
	v_fma_f16 v134, v99, 0xb08e, -v134
	v_fma_f16 v173, v98, 0xbbad, -v135
	v_fma_f16 v174, 0xbbad, v99, v136
	v_fmac_f16_e64 v135, 0xbbad, v98
	;; [unrolled: 4-line block ×4, first 2 shown]
	v_fma_f16 v140, v99, 0x3abb, -v140
	v_fma_f16 v179, v98, 0xb93d, -v101
	v_fmac_f16_e32 v101, 0xb93d, v98
	v_fmamk_f16 v98, v99, 0xb93d, v100
	v_fma_f16 v99, v99, 0xb93d, -v100
	v_fma_f16 v100, v103, 0xb93d, -v141
	v_fmac_f16_e64 v141, 0xb93d, v103
	v_fma_f16 v180, v103, 0xb08e, -v142
	v_fmac_f16_e64 v142, 0xb08e, v103
	;; [unrolled: 2-line block ×4, first 2 shown]
	v_fma_f16 v183, v103, 0x36a6, -v105
	v_fmac_f16_e32 v105, 0x36a6, v103
	v_fma_f16 v103, 0xb93d, v109, v145
	v_fma_f16 v145, v109, 0xb93d, -v145
	v_fma_f16 v184, 0xb08e, v109, v146
	v_fma_f16 v146, v109, 0xb08e, -v146
	;; [unrolled: 2-line block ×5, first 2 shown]
	v_fma_f16 v109, v113, 0xbbad, -v149
	v_fmac_f16_e64 v149, 0xbbad, v113
	v_fma_f16 v188, v113, 0x3abb, -v150
	v_fmac_f16_e64 v150, 0x3abb, v113
	;; [unrolled: 2-line block ×4, first 2 shown]
	v_fma_f16 v191, v113, 0xb08e, -v111
	v_fmac_f16_e32 v111, 0xb08e, v113
	v_fma_f16 v113, 0xbbad, v117, v153
	v_fma_f16 v153, v117, 0xbbad, -v153
	v_fma_f16 v192, 0x3abb, v117, v154
	v_fma_f16 v154, v117, 0x3abb, -v154
	;; [unrolled: 2-line block ×5, first 2 shown]
	v_add_f16_e32 v90, v23, v90
	v_add_f16_e64 v117, v23, v157
	v_add_f16_e32 v119, v23, v119
	v_add_f16_e64 v157, v23, v159
	;; [unrolled: 2-line block ×4, first 2 shown]
	v_add_f16_e32 v23, v23, v93
	v_add_f16_e32 v93, v88, v102
	v_add_f16_e64 v102, v88, v158
	v_add_f16_e32 v104, v88, v120
	v_add_f16_e64 v106, v88, v160
	;; [unrolled: 2-line block ×4, first 2 shown]
	v_add_f16_e32 v24, v88, v24
	v_add_f16_e32 v31, v91, v89
	;; [unrolled: 1-line block ×7, first 2 shown]
	v_add_f16_e64 v90, v165, v117
	v_add_f16_e64 v91, v166, v102
	v_add_f16_e32 v92, v127, v119
	v_add_f16_e64 v93, v128, v104
	v_add_f16_e64 v102, v167, v157
	;; [unrolled: 1-line block ×11, first 2 shown]
	v_add_f16_e32 v23, v97, v23
	v_add_f16_e32 v24, v94, v24
	;; [unrolled: 1-line block ×6, first 2 shown]
	v_add_f16_e64 v32, v133, v88
	v_add_f16_e64 v88, v134, v89
	;; [unrolled: 1-line block ×15, first 2 shown]
	v_add_f16_e32 v98, v98, v123
	v_add_f16_e32 v23, v101, v23
	;; [unrolled: 1-line block ×7, first 2 shown]
	v_add_f16_e64 v31, v141, v32
	v_add_f16_e64 v32, v145, v88
	;; [unrolled: 1-line block ×16, first 2 shown]
	v_add_f16_e32 v23, v105, v23
	v_add_f16_e32 v24, v107, v24
	v_add_f16_e32 v28, v109, v29
	v_add_f16_e32 v29, v113, v30
	v_add_f16_e32 v19, v25, v19
	v_add_f16_e32 v25, v26, v118
	v_add_f16_e64 v30, v149, v31
	v_add_f16_e64 v31, v153, v32
	v_add_f16_e64 v32, v188, v88
	v_add_f16_e64 v88, v192, v89
	v_add_f16_e64 v89, v150, v90
	v_add_f16_e64 v90, v154, v91
	v_add_f16_e64 v91, v189, v92
	v_add_f16_e64 v92, v193, v93
	v_add_f16_e64 v93, v151, v94
	v_add_f16_e64 v94, v155, v95
	v_add_f16_e64 v95, v190, v96
	v_add_f16_e64 v96, v194, v97
	v_add_f16_e64 v97, v152, v99
	v_add_f16_e64 v99, v156, v100
	v_add_f16_e64 v100, v191, v101
	v_add_f16_e64 v98, v195, v98
	v_add_f16_e32 v23, v111, v23
	v_add_f16_e32 v24, v115, v24
	v_pack_b32_f16 v27, v28, v29
	v_pack_b32_f16 v19, v19, v25
	;; [unrolled: 1-line block ×11, first 2 shown]
	ds_store_2addr_b32 v36, v19, v27 offset1:66
	ds_store_2addr_b32 v36, v28, v26 offset0:132 offset1:198
	ds_store_2addr_b32 v77, v29, v32 offset0:8 offset1:74
	;; [unrolled: 1-line block ×4, first 2 shown]
	ds_store_b32 v36, v30 offset:2640
	global_wb scope:SCOPE_SE
	s_wait_dscnt 0x0
	s_barrier_signal -1
	s_barrier_wait -1
	global_inv scope:SCOPE_SE
	s_clause 0xa
	global_load_b32 v19, v[21:22], off offset:2904
	global_load_b32 v31, v59, s[0:1] offset:264
	global_load_b32 v32, v59, s[0:1] offset:528
	;; [unrolled: 1-line block ×10, first 2 shown]
	ds_load_2addr_b32 v[21:22], v36 offset1:66
	ds_load_2addr_b32 v[23:24], v36 offset0:132 offset1:198
	ds_load_2addr_b32 v[25:26], v77 offset0:8 offset1:74
	ds_load_2addr_b32 v[27:28], v77 offset0:140 offset1:206
	ds_load_2addr_b32 v[29:30], v76 offset0:16 offset1:82
	ds_load_b32 v95, v36 offset:2640
	s_wait_dscnt 0x5
	v_lshrrev_b32_e32 v96, 16, v21
	v_lshrrev_b32_e32 v97, 16, v22
	s_wait_dscnt 0x4
	v_lshrrev_b32_e32 v98, 16, v23
	v_lshrrev_b32_e32 v99, 16, v24
	;; [unrolled: 3-line block ×5, first 2 shown]
	s_wait_dscnt 0x0
	v_lshrrev_b32_e32 v106, 16, v95
	s_wait_loadcnt 0xa
	v_lshrrev_b32_e32 v107, 16, v19
	s_wait_loadcnt 0x9
	;; [unrolled: 2-line block ×11, first 2 shown]
	v_lshrrev_b32_e32 v117, 16, v59
	v_mul_f16_e32 v118, v96, v107
	v_mul_f16_e32 v107, v21, v107
	;; [unrolled: 1-line block ×20, first 2 shown]
	v_mul_f16_e64 v128, v106, v117
	v_mul_f16_e32 v117, v95, v117
	v_fma_f16 v21, v21, v19, -v118
	v_fmac_f16_e32 v107, v96, v19
	v_fma_f16 v19, v22, v31, -v119
	v_fmac_f16_e32 v108, v97, v31
	;; [unrolled: 2-line block ×11, first 2 shown]
	v_pack_b32_f16 v21, v21, v107
	v_pack_b32_f16 v19, v19, v108
	;; [unrolled: 1-line block ×11, first 2 shown]
	ds_store_2addr_b32 v36, v21, v19 offset1:66
	ds_store_2addr_b32 v36, v22, v23 offset0:132 offset1:198
	ds_store_2addr_b32 v77, v24, v25 offset0:8 offset1:74
	;; [unrolled: 1-line block ×4, first 2 shown]
	ds_store_b32 v36, v30 offset:2640
	global_wb scope:SCOPE_SE
	s_wait_dscnt 0x0
	s_barrier_signal -1
	s_barrier_wait -1
	global_inv scope:SCOPE_SE
	ds_load_2addr_b32 v[25:26], v36 offset1:66
	ds_load_b32 v29, v36 offset:2640
	ds_load_2addr_b32 v[30:31], v36 offset0:132 offset1:198
	ds_load_2addr_b32 v[21:22], v76 offset0:16 offset1:82
	;; [unrolled: 1-line block ×4, first 2 shown]
	v_add_nc_u32_e32 v89, 0x200, v36
	v_add_nc_u32_e32 v90, 0x600, v36
	global_wb scope:SCOPE_SE
	s_wait_dscnt 0x0
	s_barrier_signal -1
	s_barrier_wait -1
	global_inv scope:SCOPE_SE
	v_pk_add_f16 v19, v25, v26
	v_pk_add_f16 v32, v29, v26
	v_pk_add_f16 v26, v26, v29 neg_lo:[0,1] neg_hi:[0,1]
	v_pk_add_f16 v88, v22, v30
	v_pk_add_f16 v91, v30, v22 neg_lo:[0,1] neg_hi:[0,1]
	;; [unrolled: 2-line block ×5, first 2 shown]
	v_pk_add_f16 v19, v19, v30
	v_pk_mul_f16 v30, 0xb853, v26 op_sel_hi:[0,1]
	v_lshrrev_b32_e32 v99, 16, v26
	v_lshrrev_b32_e32 v100, 16, v32
	;; [unrolled: 1-line block ×8, first 2 shown]
	v_pk_mul_f16 v113, 0xbbad, v32 op_sel_hi:[0,1]
	v_lshrrev_b32_e32 v111, 16, v97
	v_lshrrev_b32_e32 v112, 16, v96
	v_pk_add_f16 v19, v19, v31
	v_pk_mul_f16 v101, 0xbb47, v91 op_sel_hi:[0,1]
	v_pk_mul_f16 v104, 0xbbeb, v93 op_sel_hi:[0,1]
	;; [unrolled: 1-line block ×6, first 2 shown]
	v_pk_fma_f16 v31, 0x3abb, v32, v30 op_sel:[0,0,1] op_sel_hi:[0,1,0]
	v_pk_fma_f16 v30, 0x3abb, v32, v30 op_sel:[0,0,1] op_sel_hi:[0,1,0] neg_lo:[0,0,1] neg_hi:[0,0,1]
	v_mul_f16_e32 v118, 0xbb47, v99
	v_mul_f16_e32 v119, 0x36a6, v100
	;; [unrolled: 1-line block ×12, first 2 shown]
	v_mul_f16_e64 v128, 0x3482, v105
	v_mul_f16_e64 v129, 0xbbad, v106
	;; [unrolled: 1-line block ×4, first 2 shown]
	v_mul_f16_e32 v105, 0xb853, v105
	v_mul_f16_e32 v106, 0x3abb, v106
	v_mul_f16_e64 v133, 0x3beb, v108
	v_mul_f16_e64 v134, 0xb08e, v109
	;; [unrolled: 1-line block ×4, first 2 shown]
	v_mul_f16_e32 v108, 0xb482, v108
	v_mul_f16_e32 v109, 0xbbad, v109
	v_pk_fma_f16 v142, 0xb482, v26, v113 op_sel:[0,0,1] op_sel_hi:[0,1,0]
	v_pk_mul_f16 v110, 0xb482, v97 op_sel_hi:[0,1]
	s_wait_alu 0xfffe
	v_alignbit_b32 v98, s0, v25, 16
	v_pk_mul_f16 v117, 0xb08e, v96 op_sel_hi:[0,1]
	v_mul_f16_e64 v138, 0x3853, v111
	v_mul_f16_e64 v139, 0x3abb, v112
	;; [unrolled: 1-line block ×4, first 2 shown]
	v_mul_f16_e32 v111, 0x3b47, v111
	v_mul_f16_e32 v112, 0x36a6, v112
	v_pk_add_f16 v19, v19, v27
	v_lshrrev_b32_e32 v59, 16, v25
	v_pk_fma_f16 v122, 0x36a6, v88, v101 op_sel:[0,0,1] op_sel_hi:[0,1,0]
	v_pk_fma_f16 v101, 0x36a6, v88, v101 op_sel:[0,0,1] op_sel_hi:[0,1,0] neg_lo:[0,0,1] neg_hi:[0,0,1]
	v_pk_fma_f16 v127, 0xb08e, v92, v104 op_sel:[0,0,1] op_sel_hi:[0,1,0]
	v_pk_fma_f16 v104, 0xb08e, v92, v104 op_sel:[0,0,1] op_sel_hi:[0,1,0] neg_lo:[0,0,1] neg_hi:[0,0,1]
	;; [unrolled: 2-line block ×3, first 2 shown]
	v_pk_fma_f16 v113, 0xb482, v26, v113 op_sel:[0,0,1] op_sel_hi:[0,1,0] neg_lo:[0,1,0] neg_hi:[0,1,0]
	v_pk_fma_f16 v143, 0x3853, v91, v114 op_sel:[0,0,1] op_sel_hi:[0,1,0]
	v_pk_fma_f16 v114, 0x3853, v91, v114 op_sel:[0,0,1] op_sel_hi:[0,1,0] neg_lo:[0,1,0] neg_hi:[0,1,0]
	v_pk_fma_f16 v144, 0xba0c, v93, v115 op_sel:[0,0,1] op_sel_hi:[0,1,0]
	;; [unrolled: 2-line block ×3, first 2 shown]
	v_pk_fma_f16 v116, 0x3b47, v95, v116 op_sel:[0,0,1] op_sel_hi:[0,1,0] neg_lo:[0,1,0] neg_hi:[0,1,0]
	v_fmamk_f16 v27, v32, 0x36a6, v118
	v_fma_f16 v147, 0x3b47, v26, v119
	v_fma_f16 v118, v32, 0x36a6, -v118
	v_fmac_f16_e32 v119, 0xbb47, v26
	v_fma_f16 v148, 0xb08e, v32, v120
	v_fma_f16 v149, 0x3beb, v26, v121
	v_fma_f16 v120, v32, 0xb08e, -v120
	v_fmac_f16_e32 v121, 0xbbeb, v26
	v_fma_f16 v150, 0xb93d, v32, v99
	v_fma_f16 v151, 0x3a0c, v26, v100
	v_fma_f16 v32, v32, 0xb93d, -v99
	v_fmac_f16_e32 v100, 0xba0c, v26
	v_fmamk_f16 v26, v88, 0xb93d, v123
	v_fmamk_f16 v99, v91, 0x3a0c, v124
	v_fma_f16 v123, v88, 0xb93d, -v123
	v_fmac_f16_e32 v124, 0xba0c, v91
	v_fma_f16 v152, 0xbbad, v88, v125
	v_fma_f16 v153, 0xb482, v91, v126
	v_fma_f16 v125, v88, 0xbbad, -v125
	v_fmac_f16_e32 v126, 0x3482, v91
	v_fma_f16 v154, 0xb08e, v88, v102
	v_fma_f16 v155, 0xbbeb, v91, v103
	;; [unrolled: 4-line block ×3, first 2 shown]
	v_fma_f16 v128, v92, 0xbbad, -v128
	v_fmac_f16_e64 v129, 0x3482, v93
	v_fma_f16 v156, 0x36a6, v92, v130
	v_fma_f16 v157, 0xbb47, v93, v131
	v_fma_f16 v130, v92, 0x36a6, -v130
	v_fmac_f16_e64 v131, 0x3b47, v93
	v_fma_f16 v158, 0x3abb, v92, v105
	v_fma_f16 v159, 0x3853, v93, v106
	v_fma_f16 v92, v92, 0x3abb, -v105
	v_fmac_f16_e32 v106, 0xb853, v93
	v_fma_f16 v93, 0xb08e, v94, v133
	v_fma_f16 v105, 0xbbeb, v95, v134
	v_fma_f16 v133, v94, 0xb08e, -v133
	v_fmac_f16_e64 v134, 0x3beb, v95
	v_fma_f16 v160, 0x3abb, v94, v135
	v_fma_f16 v161, 0x3853, v95, v136
	v_fma_f16 v135, v94, 0x3abb, -v135
	v_fmac_f16_e64 v136, 0xb853, v95
	v_fma_f16 v162, 0xbbad, v94, v108
	v_fma_f16 v94, v94, 0xbbad, -v108
	v_fmamk_f16 v108, v95, 0x3482, v109
	v_fmac_f16_e32 v109, 0xb482, v95
	v_bfi_b32 v95, 0xffff, v31, v30
	v_bfi_b32 v30, 0xffff, v30, v31
	v_alignbit_b32 v31, s0, v142, 16
	v_pk_fma_f16 v137, 0xbbad, v96, v110 op_sel:[0,0,1] op_sel_hi:[0,1,0]
	v_pk_fma_f16 v110, 0xbbad, v96, v110 op_sel:[0,0,1] op_sel_hi:[0,1,0] neg_lo:[0,0,1] neg_hi:[0,0,1]
	v_pk_fma_f16 v146, 0xbbeb, v97, v117 op_sel:[0,0,1] op_sel_hi:[0,1,0]
	v_pk_fma_f16 v117, 0xbbeb, v97, v117 op_sel:[0,0,1] op_sel_hi:[0,1,0] neg_lo:[0,1,0] neg_hi:[0,1,0]
	v_fma_f16 v163, 0x3abb, v96, v138
	v_fma_f16 v164, 0xb853, v97, v139
	v_fma_f16 v138, v96, 0x3abb, -v138
	v_fmac_f16_e64 v139, 0x3853, v97
	v_fma_f16 v165, 0xb93d, v96, v140
	v_fma_f16 v140, v96, 0xb93d, -v140
	v_fma_f16 v166, 0x36a6, v96, v111
	v_fma_f16 v96, v96, 0x36a6, -v111
	v_fma_f16 v111, 0x3a0c, v97, v141
	v_fmac_f16_e64 v141, 0xba0c, v97
	v_fma_f16 v167, 0xbb47, v97, v112
	v_fmac_f16_e32 v112, 0x3b47, v97
	v_pk_add_f16 v97, v98, v142
	v_pk_add_f16 v19, v19, v28
	v_pk_add_f16 v113, v25, v113 op_sel:[1,0] op_sel_hi:[0,1]
	v_bfi_b32 v98, 0xffff, v122, v101
	v_pk_add_f16 v28, v25, v95
	v_add_f16_e32 v27, v25, v27
	v_add_f16_e32 v95, v25, v118
	v_add_f16_e64 v118, v25, v148
	v_add_f16_e32 v120, v25, v120
	v_add_f16_e64 v148, v25, v150
	v_add_f16_e32 v32, v25, v32
	v_pk_add_f16 v31, v25, v31
	v_pk_add_f16 v25, v25, v30
	v_add_f16_e64 v30, v59, v147
	v_add_f16_e32 v119, v59, v119
	v_add_f16_e64 v147, v59, v149
	v_add_f16_e64 v149, v59, v151
	v_bfi_b32 v101, 0xffff, v101, v122
	v_bfi_b32 v122, 0xffff, v127, v104
	;; [unrolled: 1-line block ×7, first 2 shown]
	v_alignbit_b32 v137, s0, v143, 16
	v_add_f16_e32 v121, v59, v121
	v_add_f16_e32 v59, v59, v100
	v_pk_add_f16 v97, v143, v97
	v_pk_add_f16 v19, v19, v23
	;; [unrolled: 1-line block ×4, first 2 shown]
	v_add_f16_e32 v26, v26, v27
	v_add_f16_e32 v23, v99, v30
	;; [unrolled: 1-line block ×4, first 2 shown]
	v_add_f16_e64 v95, v152, v118
	v_add_f16_e64 v98, v153, v147
	v_add_f16_e32 v99, v125, v120
	v_add_f16_e64 v114, v154, v148
	v_add_f16_e64 v118, v155, v149
	v_alignbit_b32 v142, s0, v144, 16
	v_add_f16_e32 v113, v126, v121
	v_pk_add_f16 v31, v137, v31
	v_add_f16_e32 v32, v88, v32
	v_add_f16_e32 v59, v103, v59
	v_pk_add_f16 v97, v144, v97
	v_pk_add_f16 v25, v101, v25
	;; [unrolled: 1-line block ×5, first 2 shown]
	v_add_f16_e32 v26, v91, v26
	v_add_f16_e32 v23, v102, v23
	v_add_f16_e64 v27, v128, v27
	v_add_f16_e64 v28, v129, v30
	;; [unrolled: 1-line block ×7, first 2 shown]
	v_alignbit_b32 v168, s0, v145, 16
	v_add_f16_e64 v98, v131, v113
	v_pk_add_f16 v31, v142, v31
	v_add_f16_e32 v32, v92, v32
	v_add_f16_e32 v59, v106, v59
	v_pk_add_f16 v92, v145, v97
	v_pk_add_f16 v25, v104, v25
	;; [unrolled: 1-line block ×5, first 2 shown]
	v_add_f16_e32 v24, v93, v26
	v_add_f16_e32 v23, v105, v23
	v_add_f16_e64 v26, v133, v27
	v_add_f16_e64 v27, v134, v28
	;; [unrolled: 1-line block ×6, first 2 shown]
	v_add_f16_e32 v97, v108, v100
	v_alignbit_b32 v169, s0, v146, 16
	v_add_f16_e64 v93, v136, v98
	v_pk_add_f16 v98, v168, v31
	v_add_f16_e32 v94, v94, v32
	v_add_f16_e32 v59, v109, v59
	v_pk_add_f16 v31, v146, v92
	v_pk_add_f16 v25, v107, v25
	;; [unrolled: 1-line block ×4, first 2 shown]
	v_add_f16_e64 v100, v163, v24
	v_add_f16_e64 v101, v164, v23
	;; [unrolled: 1-line block ×5, first 2 shown]
	v_add_f16_e32 v27, v111, v30
	v_add_f16_e64 v28, v166, v95
	v_add_f16_e64 v30, v167, v97
	;; [unrolled: 1-line block ×3, first 2 shown]
	v_pk_add_f16 v91, v169, v98
	v_add_f16_e64 v32, v141, v93
	v_add_f16_e32 v22, v96, v94
	v_add_f16_e32 v59, v112, v59
	v_pk_add_f16 v21, v132, v21
	v_pk_add_f16 v19, v110, v25
	v_pk_add_f16 v25, v92, v29
	v_pack_b32_f16 v26, v26, v27
	v_pack_b32_f16 v27, v100, v101
	;; [unrolled: 1-line block ×3, first 2 shown]
	v_alignbit_b32 v93, v31, v99, 16
	v_pack_b32_f16 v29, v91, v99
	v_pack_b32_f16 v30, v23, v32
	;; [unrolled: 1-line block ×4, first 2 shown]
	ds_store_2addr_b32 v58, v25, v21 offset1:1
	ds_store_2addr_b32 v58, v27, v26 offset0:2 offset1:3
	ds_store_b32 v58, v28 offset:16
	ds_store_2addr_b32 v58, v29, v93 offset0:5 offset1:6
	ds_store_2addr_b32 v58, v91, v30 offset0:7 offset1:8
	ds_store_2addr_b32 v58, v92, v19 offset0:9 offset1:10
	global_wb scope:SCOPE_SE
	s_wait_dscnt 0x0
	s_barrier_signal -1
	s_barrier_wait -1
	global_inv scope:SCOPE_SE
	ds_load_2addr_b32 v[25:26], v36 offset1:121
	ds_load_2addr_b32 v[29:30], v89 offset0:114 offset1:235
	ds_load_2addr_b32 v[27:28], v90 offset0:100 offset1:221
	v_lshrrev_b32_e32 v21, 16, v99
	v_lshrrev_b32_e32 v58, 16, v19
	s_and_saveexec_b32 s0, vcc_lo
	s_cbranch_execz .LBB0_7
; %bb.6:
	ds_load_2addr_b32 v[21:22], v36 offset0:66 offset1:187
	ds_load_2addr_b32 v[23:24], v77 offset0:52 offset1:173
	;; [unrolled: 1-line block ×3, first 2 shown]
	s_wait_dscnt 0x2
	v_lshrrev_b32_e32 v31, 16, v21
	v_lshrrev_b32_e32 v59, 16, v22
	s_wait_dscnt 0x1
	v_lshrrev_b32_e32 v32, 16, v23
	v_lshrrev_b32_e32 v88, 16, v24
	;; [unrolled: 3-line block ×3, first 2 shown]
.LBB0_7:
	s_wait_alu 0xfffe
	s_or_b32 exec_lo, exec_lo, s0
	s_wait_dscnt 0x2
	v_lshrrev_b32_e32 v76, 16, v26
	s_wait_dscnt 0x1
	v_lshrrev_b32_e32 v89, 16, v29
	v_lshrrev_b32_e32 v90, 16, v30
	s_wait_dscnt 0x0
	v_lshrrev_b32_e32 v91, 16, v27
	v_lshrrev_b32_e32 v93, 16, v28
	v_mul_f16_e32 v92, v75, v76
	v_mul_f16_e32 v94, v74, v89
	v_mul_f16_e32 v75, v75, v26
	v_mul_f16_e32 v74, v74, v29
	v_lshrrev_b32_e32 v77, 16, v25
	v_fmac_f16_e32 v92, v4, v26
	v_mul_f16_e32 v26, v73, v90
	v_fmac_f16_e32 v94, v5, v29
	v_mul_f16_e32 v29, v72, v91
	v_mul_f16_e32 v73, v73, v30
	v_fma_f16 v5, v5, v89, -v74
	v_fmac_f16_e32 v26, v6, v30
	v_mul_f16_e32 v30, v72, v27
	v_fmac_f16_e32 v29, v7, v27
	v_mul_f16_e32 v27, v71, v93
	v_mul_f16_e32 v71, v71, v28
	v_fma_f16 v6, v6, v90, -v73
	v_fma_f16 v7, v7, v91, -v30
	v_add_f16_e32 v30, v94, v29
	v_fmac_f16_e32 v27, v63, v28
	v_add_f16_e32 v28, v25, v94
	v_fma_f16 v63, v63, v93, -v71
	v_add_f16_e32 v71, v5, v7
	v_fmac_f16_e32 v25, -0.5, v30
	v_sub_f16_e32 v30, v5, v7
	v_fma_f16 v4, v4, v76, -v75
	v_add_f16_e32 v5, v77, v5
	v_fmac_f16_e32 v77, -0.5, v71
	v_add_f16_e32 v28, v28, v29
	v_fmamk_f16 v71, v30, 0xbaee, v25
	v_fmac_f16_e32 v25, 0x3aee, v30
	v_add_f16_e32 v30, v6, v63
	v_sub_f16_e32 v29, v94, v29
	v_add_f16_e32 v72, v26, v27
	v_add_f16_e32 v73, v4, v6
	;; [unrolled: 1-line block ×3, first 2 shown]
	v_fmac_f16_e32 v4, -0.5, v30
	v_sub_f16_e32 v30, v26, v27
	v_fmamk_f16 v7, v29, 0x3aee, v77
	v_add_f16_e32 v26, v92, v26
	v_fmac_f16_e32 v92, -0.5, v72
	v_sub_f16_e32 v6, v6, v63
	v_fmac_f16_e32 v77, 0xbaee, v29
	v_fmamk_f16 v29, v30, 0x3aee, v4
	v_fmac_f16_e32 v4, 0xbaee, v30
	v_add_f16_e32 v26, v26, v27
	v_fmamk_f16 v27, v6, 0xbaee, v92
	v_fmac_f16_e32 v92, 0x3aee, v6
	v_mul_f16_e32 v6, 0xbaee, v29
	v_mul_f16_e32 v29, 0.5, v29
	v_mul_f16_e32 v30, 0xbaee, v4
	v_mul_f16_e32 v4, -0.5, v4
	v_add_f16_e32 v63, v73, v63
	v_fmac_f16_e32 v6, 0.5, v27
	v_fmac_f16_e32 v29, 0x3aee, v27
	v_fmac_f16_e32 v30, -0.5, v92
	v_fmac_f16_e32 v4, 0x3aee, v92
	v_add_f16_e32 v72, v28, v26
	v_add_f16_e32 v27, v71, v6
	;; [unrolled: 1-line block ×6, first 2 shown]
	v_sub_f16_e32 v26, v28, v26
	v_sub_f16_e32 v5, v5, v63
	;; [unrolled: 1-line block ×6, first 2 shown]
	v_pack_b32_f16 v28, v72, v74
	v_pack_b32_f16 v27, v27, v75
	;; [unrolled: 1-line block ×6, first 2 shown]
	global_wb scope:SCOPE_SE
	s_barrier_signal -1
	s_barrier_wait -1
	global_inv scope:SCOPE_SE
	ds_store_2addr_b32 v69, v28, v27 offset1:11
	ds_store_2addr_b32 v69, v29, v5 offset0:22 offset1:33
	ds_store_2addr_b32 v69, v6, v4 offset0:44 offset1:55
	s_and_saveexec_b32 s0, vcc_lo
	s_cbranch_execz .LBB0_9
; %bb.8:
	v_mul_f16_e32 v7, v68, v24
	v_mul_f16_e32 v25, v67, v20
	v_mul_f16_e32 v4, v64, v23
	v_mul_f16_e32 v5, v65, v19
	v_mul_f16_e32 v6, v68, v88
	v_mul_f16_e32 v26, v67, v70
	v_mul_f16_e32 v27, v66, v22
	v_fma_f16 v7, v2, v88, -v7
	v_fma_f16 v25, v61, v70, -v25
	;; [unrolled: 1-line block ×4, first 2 shown]
	v_mul_f16_e32 v29, v66, v59
	v_fmac_f16_e32 v6, v2, v24
	v_fmac_f16_e32 v26, v61, v20
	v_fma_f16 v2, v0, v59, -v27
	v_add_f16_e32 v20, v7, v25
	v_mul_f16_e32 v24, v64, v32
	v_mul_f16_e32 v27, v65, v58
	v_add_f16_e32 v28, v4, v5
	v_fmac_f16_e32 v29, v0, v22
	v_add_f16_e32 v0, v6, v26
	v_fma_f16 v20, -0.5, v20, v2
	v_sub_f16_e32 v22, v6, v26
	v_fmac_f16_e32 v24, v1, v23
	v_fmac_f16_e32 v27, v3, v19
	v_fma_f16 v0, -0.5, v0, v29
	v_sub_f16_e32 v1, v7, v25
	v_fmamk_f16 v3, v22, 0xbaee, v20
	v_fma_f16 v19, -0.5, v28, v31
	v_fmac_f16_e32 v20, 0x3aee, v22
	v_sub_f16_e32 v22, v24, v27
	v_fmamk_f16 v23, v1, 0x3aee, v0
	v_fmac_f16_e32 v0, 0xbaee, v1
	v_add_f16_e32 v31, v31, v4
	v_mul_f16_e32 v1, 0.5, v20
	v_fmamk_f16 v30, v22, 0xbaee, v19
	v_fmac_f16_e32 v19, 0x3aee, v22
	v_add_f16_e32 v22, v24, v27
	v_mul_f16_e32 v20, 0xbaee, v20
	v_fmac_f16_e32 v1, 0x3aee, v0
	v_add_f16_e32 v2, v2, v7
	v_sub_f16_e32 v4, v4, v5
	v_fma_f16 v7, -0.5, v22, v21
	v_fmac_f16_e32 v20, 0.5, v0
	v_add_f16_e32 v0, v21, v24
	v_add_f16_e32 v6, v29, v6
	v_mul_f16_e32 v28, -0.5, v3
	v_mul_f16_e32 v3, 0xbaee, v3
	v_add_f16_e32 v5, v31, v5
	v_add_f16_e32 v2, v2, v25
	v_fmamk_f16 v22, v4, 0x3aee, v7
	v_fmac_f16_e32 v7, 0xbaee, v4
	v_add_f16_e32 v0, v0, v27
	v_mul_u32_u24_e32 v24, 0x42, v62
	v_add_f16_e32 v6, v6, v26
	v_fmac_f16_e32 v28, 0x3aee, v23
	v_fmac_f16_e32 v3, -0.5, v23
	v_sub_f16_e32 v58, v19, v1
	v_sub_f16_e32 v4, v5, v2
	;; [unrolled: 1-line block ×3, first 2 shown]
	v_add_f16_e32 v1, v19, v1
	v_add_f16_e32 v2, v5, v2
	v_add_nc_u32_e32 v5, v24, v60
	v_add_f16_e32 v19, v0, v6
	v_add_f16_e32 v7, v7, v20
	v_sub_f16_e32 v21, v22, v3
	v_add_f16_e32 v25, v30, v28
	v_add_f16_e32 v3, v22, v3
	v_sub_f16_e32 v0, v0, v6
	v_sub_f16_e32 v32, v30, v28
	v_lshl_add_u32 v5, v5, 2, v57
	v_pack_b32_f16 v2, v19, v2
	v_pack_b32_f16 v1, v7, v1
	v_pack_b32_f16 v3, v3, v25
	v_pack_b32_f16 v0, v0, v4
	v_pack_b32_f16 v4, v23, v58
	v_pack_b32_f16 v6, v21, v32
	ds_store_2addr_b32 v5, v2, v1 offset1:11
	ds_store_2addr_b32 v5, v3, v0 offset0:22 offset1:33
	ds_store_2addr_b32 v5, v4, v6 offset0:44 offset1:55
.LBB0_9:
	s_wait_alu 0xfffe
	s_or_b32 exec_lo, exec_lo, s0
	global_wb scope:SCOPE_SE
	s_wait_dscnt 0x0
	s_barrier_signal -1
	s_barrier_wait -1
	global_inv scope:SCOPE_SE
	ds_load_2addr_b32 v[2:3], v36 offset1:66
	ds_load_2addr_b32 v[4:5], v36 offset0:132 offset1:198
	v_add_nc_u32_e32 v1, 0x400, v36
	v_add_nc_u32_e32 v0, 0x800, v36
	ds_load_b32 v23, v36 offset:2640
	ds_load_2addr_b32 v[6:7], v1 offset0:8 offset1:74
	ds_load_2addr_b32 v[19:20], v1 offset0:140 offset1:206
	;; [unrolled: 1-line block ×3, first 2 shown]
	s_mov_b32 s8, 0x3a88d0c0
	s_mov_b32 s9, 0x3f569147
	s_wait_dscnt 0x5
	v_lshrrev_b32_e32 v25, 16, v3
	s_wait_dscnt 0x4
	v_lshrrev_b32_e32 v26, 16, v4
	v_lshrrev_b32_e32 v27, 16, v5
	v_mul_f16_e32 v29, v86, v3
	v_mul_f16_e32 v30, v87, v4
	s_wait_dscnt 0x2
	v_lshrrev_b32_e32 v31, 16, v6
	v_mul_f16_e32 v60, v86, v25
	v_mul_f16_e32 v61, v87, v26
	v_lshrrev_b32_e32 v32, 16, v7
	v_fma_f16 v25, v12, v25, -v29
	v_mul_f16_e32 v29, v85, v27
	v_fmac_f16_e32 v60, v12, v3
	v_fmac_f16_e32 v61, v13, v4
	v_mul_f16_e32 v4, v84, v31
	v_fma_f16 v12, v13, v26, -v30
	v_mul_f16_e32 v13, v84, v6
	v_lshrrev_b32_e32 v24, 16, v2
	v_mul_f16_e32 v3, v85, v5
	v_fmac_f16_e32 v29, v14, v5
	v_fmac_f16_e32 v4, v15, v6
	v_mul_f16_e32 v5, v83, v32
	v_fma_f16 v6, v15, v31, -v13
	v_add_f16_e32 v13, v2, v60
	s_wait_dscnt 0x1
	v_lshrrev_b32_e32 v57, 16, v19
	v_fma_f16 v3, v14, v27, -v3
	v_mul_f16_e32 v14, v83, v7
	v_fmac_f16_e32 v5, v8, v7
	v_add_f16_e32 v7, v24, v25
	v_add_f16_e32 v13, v13, v61
	v_lshrrev_b32_e32 v58, 16, v20
	v_mul_f16_e32 v15, v82, v57
	s_wait_dscnt 0x0
	v_lshrrev_b32_e32 v59, 16, v21
	v_add_f16_e32 v7, v7, v12
	v_add_f16_e32 v13, v13, v29
	v_fma_f16 v8, v8, v32, -v14
	v_fmac_f16_e32 v15, v9, v19
	v_mul_f16_e32 v14, v82, v19
	v_mul_f16_e32 v19, v81, v58
	v_add_f16_e32 v7, v7, v3
	v_add_f16_e32 v13, v13, v4
	v_lshrrev_b32_e32 v62, 16, v22
	v_mul_f16_e32 v26, v81, v20
	v_fma_f16 v9, v9, v57, -v14
	v_fmac_f16_e32 v19, v10, v20
	v_mul_f16_e32 v14, v80, v59
	v_add_f16_e32 v7, v7, v6
	v_add_f16_e32 v13, v13, v5
	v_mul_f16_e32 v20, v80, v21
	v_lshrrev_b32_e32 v28, 16, v23
	v_fma_f16 v10, v10, v58, -v26
	v_mul_f16_e32 v26, v78, v62
	v_fmac_f16_e32 v14, v11, v21
	v_add_f16_e32 v7, v7, v8
	v_add_f16_e32 v13, v13, v15
	v_fma_f16 v11, v11, v59, -v20
	v_mul_f16_e32 v20, v79, v23
	v_fmac_f16_e32 v26, v17, v22
	v_add_f16_e32 v7, v7, v9
	v_add_f16_e32 v13, v13, v19
	v_mul_f16_e32 v21, v78, v22
	v_mul_f16_e32 v22, v79, v28
	v_fma_f16 v20, v18, v28, -v20
	v_add_f16_e32 v7, v7, v10
	v_add_f16_e32 v13, v13, v14
	v_fma_f16 v17, v17, v62, -v21
	v_fmac_f16_e32 v22, v18, v23
	v_sub_f16_e32 v18, v25, v20
	v_add_f16_e32 v7, v7, v11
	v_add_f16_e32 v13, v13, v26
	;; [unrolled: 1-line block ×4, first 2 shown]
	v_mul_f16_e32 v25, 0xb853, v18
	v_sub_f16_e32 v68, v12, v17
	v_add_f16_e32 v7, v7, v17
	v_sub_f16_e32 v27, v60, v22
	v_mul_f16_e32 v28, 0x3abb, v21
	v_fmamk_f16 v30, v23, 0x3abb, v25
	v_add_f16_e32 v13, v13, v22
	v_mul_f16_e32 v22, 0xbb47, v18
	v_mul_f16_e32 v32, 0x36a6, v21
	;; [unrolled: 1-line block ×8, first 2 shown]
	v_add_f16_e32 v70, v61, v26
	v_mul_f16_e32 v71, 0xbb47, v68
	v_add_f16_e32 v12, v12, v17
	v_add_f16_e32 v7, v7, v20
	v_fmamk_f16 v20, v27, 0x3853, v28
	v_add_f16_e32 v30, v2, v30
	v_fma_f16 v25, v23, 0x3abb, -v25
	v_fmac_f16_e32 v28, 0xb853, v27
	v_fmamk_f16 v31, v23, 0x36a6, v22
	v_fmamk_f16 v58, v27, 0x3b47, v32
	v_fma_f16 v22, v23, 0x36a6, -v22
	v_fmac_f16_e32 v32, 0xbb47, v27
	v_fmamk_f16 v59, v23, 0xb08e, v57
	v_fmamk_f16 v62, v27, 0x3beb, v60
	;; [unrolled: 4-line block ×4, first 2 shown]
	v_fma_f16 v17, v23, 0xbbad, -v18
	v_fmac_f16_e32 v21, 0xb482, v27
	v_sub_f16_e32 v18, v61, v26
	v_fmamk_f16 v23, v70, 0x36a6, v71
	v_mul_f16_e32 v26, 0x36a6, v12
	v_add_f16_e32 v20, v24, v20
	v_add_f16_e32 v25, v2, v25
	;; [unrolled: 1-line block ×20, first 2 shown]
	v_fmamk_f16 v23, v18, 0x3b47, v26
	v_mul_f16_e32 v24, 0xba0c, v68
	v_fma_f16 v30, v70, 0x36a6, -v71
	v_fmac_f16_e32 v26, 0xbb47, v18
	v_mul_f16_e32 v61, 0xb93d, v12
	v_add_f16_e32 v20, v23, v20
	v_fmamk_f16 v23, v70, 0xb93d, v24
	v_add_f16_e32 v25, v30, v25
	v_add_f16_e32 v26, v26, v28
	v_fmamk_f16 v28, v18, 0x3a0c, v61
	v_mul_f16_e32 v30, 0x3482, v68
	v_add_f16_e32 v23, v23, v31
	v_fma_f16 v24, v70, 0xb93d, -v24
	v_fmac_f16_e32 v61, 0xba0c, v18
	v_add_f16_e32 v28, v28, v58
	v_fmamk_f16 v31, v70, 0xbbad, v30
	v_mul_f16_e32 v58, 0xbbad, v12
	v_add_f16_e32 v22, v24, v22
	v_add_f16_e32 v24, v61, v32
	v_mul_f16_e32 v32, 0x3beb, v68
	v_add_f16_e32 v31, v31, v59
	v_fmamk_f16 v59, v18, 0xb482, v58
	v_fma_f16 v30, v70, 0xbbad, -v30
	v_fmac_f16_e32 v58, 0x3482, v18
	v_mul_f16_e32 v69, 0xb08e, v12
	v_fmamk_f16 v61, v70, 0xb08e, v32
	v_mul_f16_e32 v12, 0x3abb, v12
	v_add_f16_e32 v30, v30, v57
	v_add_f16_e32 v57, v58, v60
	v_fmamk_f16 v60, v18, 0xbbeb, v69
	v_fma_f16 v32, v70, 0xb08e, -v32
	v_fmac_f16_e32 v69, 0x3beb, v18
	v_add_f16_e32 v58, v61, v65
	v_mul_f16_e32 v61, 0x3853, v68
	v_fmamk_f16 v65, v18, 0xb853, v12
	v_add_f16_e32 v32, v32, v63
	v_add_f16_e32 v63, v69, v64
	v_sub_f16_e32 v64, v3, v11
	v_add_f16_e32 v3, v3, v11
	v_add_f16_e32 v59, v59, v62
	v_fmamk_f16 v62, v70, 0x3abb, v61
	v_add_f16_e32 v27, v65, v27
	v_add_f16_e32 v65, v29, v14
	v_mul_f16_e32 v11, 0xbbeb, v64
	v_fma_f16 v61, v70, 0x3abb, -v61
	v_fmac_f16_e32 v12, 0x3853, v18
	v_sub_f16_e32 v14, v29, v14
	v_mul_f16_e32 v18, 0xb08e, v3
	v_fmamk_f16 v29, v65, 0xb08e, v11
	v_add_f16_e32 v2, v61, v2
	v_add_f16_e32 v12, v12, v17
	v_mul_f16_e32 v17, 0x3482, v64
	v_fmamk_f16 v61, v14, 0x3beb, v18
	v_add_f16_e32 v21, v29, v21
	v_fma_f16 v11, v65, 0xb08e, -v11
	v_fmac_f16_e32 v18, 0xbbeb, v14
	v_fmamk_f16 v29, v65, 0xbbad, v17
	v_add_f16_e32 v20, v61, v20
	v_mul_f16_e32 v61, 0xbbad, v3
	v_add_f16_e32 v11, v11, v25
	v_add_f16_e32 v18, v18, v26
	;; [unrolled: 1-line block ×3, first 2 shown]
	v_mul_f16_e32 v25, 0x3b47, v64
	v_fmamk_f16 v26, v14, 0xb482, v61
	v_fma_f16 v17, v65, 0xbbad, -v17
	v_fmac_f16_e32 v61, 0x3482, v14
	v_mul_f16_e32 v29, 0x36a6, v3
	v_add_f16_e32 v60, v60, v66
	v_fmamk_f16 v66, v65, 0x36a6, v25
	v_add_f16_e32 v17, v17, v22
	v_add_f16_e32 v22, v61, v24
	v_fmamk_f16 v24, v14, 0xbb47, v29
	v_add_f16_e32 v26, v26, v28
	v_add_f16_e32 v28, v66, v31
	v_mul_f16_e32 v31, 0xb853, v64
	v_fma_f16 v25, v65, 0x36a6, -v25
	v_fmac_f16_e32 v29, 0x3b47, v14
	v_add_f16_e32 v24, v24, v59
	v_mul_f16_e32 v59, 0x3abb, v3
	v_fmamk_f16 v61, v65, 0x3abb, v31
	v_add_f16_e32 v25, v25, v30
	v_add_f16_e32 v29, v29, v57
	v_mul_f16_e32 v30, 0xba0c, v64
	v_fmamk_f16 v57, v14, 0x3853, v59
	v_add_f16_e32 v62, v62, v67
	v_add_f16_e32 v58, v61, v58
	v_fma_f16 v31, v65, 0x3abb, -v31
	v_fmac_f16_e32 v59, 0xb853, v14
	v_fmamk_f16 v61, v65, 0xb93d, v30
	v_add_f16_e32 v57, v57, v60
	v_mul_f16_e32 v3, 0xb93d, v3
	v_sub_f16_e32 v60, v6, v10
	v_add_f16_e32 v6, v6, v10
	v_add_f16_e32 v31, v31, v32
	v_add_f16_e32 v32, v59, v63
	v_add_f16_e32 v59, v61, v62
	v_fmamk_f16 v61, v14, 0x3a0c, v3
	v_fma_f16 v30, v65, 0xb93d, -v30
	v_add_f16_e32 v10, v4, v19
	v_mul_f16_e32 v62, 0xba0c, v60
	v_fmac_f16_e32 v3, 0xba0c, v14
	v_sub_f16_e32 v4, v4, v19
	v_mul_f16_e32 v14, 0xb93d, v6
	v_add_f16_e32 v19, v61, v27
	v_fmamk_f16 v27, v10, 0xb93d, v62
	v_add_f16_e32 v2, v30, v2
	v_add_f16_e32 v3, v3, v12
	v_fmamk_f16 v12, v4, 0x3a0c, v14
	v_mul_f16_e32 v30, 0x3beb, v60
	v_fmac_f16_e32 v14, 0xba0c, v4
	v_add_f16_e32 v21, v27, v21
	v_fma_f16 v27, v10, 0xb93d, -v62
	v_add_f16_e32 v12, v12, v20
	v_fmamk_f16 v20, v10, 0xb08e, v30
	v_mul_f16_e32 v61, 0xb08e, v6
	v_add_f16_e32 v14, v14, v18
	v_mul_f16_e32 v18, 0xb853, v60
	v_add_f16_e32 v11, v27, v11
	v_add_f16_e32 v20, v20, v23
	v_fmamk_f16 v23, v4, 0xbbeb, v61
	v_fma_f16 v27, v10, 0xb08e, -v30
	v_fmamk_f16 v30, v10, 0x3abb, v18
	v_mul_f16_e32 v62, 0x3abb, v6
	v_fma_f16 v18, v10, 0x3abb, -v18
	v_add_f16_e32 v23, v23, v26
	v_add_f16_e32 v17, v27, v17
	;; [unrolled: 1-line block ×3, first 2 shown]
	v_fmamk_f16 v27, v4, 0x3853, v62
	v_mul_f16_e32 v28, 0xb482, v60
	v_mul_f16_e32 v30, 0xbbad, v6
	v_add_f16_e32 v18, v18, v25
	v_mul_f16_e32 v60, 0x3b47, v60
	v_add_f16_e32 v24, v27, v24
	v_fmamk_f16 v27, v10, 0xbbad, v28
	v_fmamk_f16 v25, v4, 0x3482, v30
	v_fma_f16 v28, v10, 0xbbad, -v28
	v_fmac_f16_e32 v30, 0xb482, v4
	v_mul_f16_e32 v6, 0x36a6, v6
	v_add_f16_e32 v27, v27, v58
	v_add_f16_e32 v25, v25, v57
	v_fmamk_f16 v57, v10, 0x36a6, v60
	v_add_f16_e32 v28, v28, v31
	v_sub_f16_e32 v31, v8, v9
	v_add_f16_e32 v30, v30, v32
	v_add_f16_e32 v58, v5, v15
	;; [unrolled: 1-line block ×4, first 2 shown]
	v_mul_f16_e32 v59, 0xb482, v31
	v_fmac_f16_e32 v61, 0x3beb, v4
	v_fmac_f16_e32 v62, 0xb853, v4
	v_fmamk_f16 v57, v4, 0xbb47, v6
	v_fma_f16 v9, v10, 0x36a6, -v60
	v_fmac_f16_e32 v6, 0x3b47, v4
	v_sub_f16_e32 v4, v5, v15
	v_fmamk_f16 v5, v58, 0xbbad, v59
	v_mul_f16_e32 v10, 0xbbad, v8
	v_add_f16_e32 v15, v57, v19
	v_add_f16_e32 v2, v9, v2
	;; [unrolled: 1-line block ×4, first 2 shown]
	v_fmamk_f16 v6, v4, 0x3482, v10
	v_mul_f16_e32 v9, 0x3853, v31
	v_fma_f16 v19, v58, 0xbbad, -v59
	v_fmac_f16_e32 v10, 0xb482, v4
	v_mul_f16_e32 v21, 0x3abb, v8
	v_add_f16_e32 v22, v61, v22
	v_add_f16_e32 v6, v6, v12
	v_fmamk_f16 v12, v58, 0x3abb, v9
	v_add_f16_e32 v11, v19, v11
	v_add_f16_e32 v10, v10, v14
	v_fmamk_f16 v14, v4, 0xb853, v21
	v_mul_f16_e32 v19, 0xba0c, v31
	v_fma_f16 v9, v58, 0x3abb, -v9
	v_fmac_f16_e32 v21, 0x3853, v4
	v_add_f16_e32 v12, v12, v20
	v_add_f16_e32 v14, v14, v23
	v_fmamk_f16 v20, v58, 0xb93d, v19
	v_mul_f16_e32 v23, 0xb93d, v8
	v_add_f16_e32 v9, v9, v17
	v_add_f16_e32 v17, v21, v22
	v_mul_f16_e32 v21, 0x3b47, v31
	v_add_f16_e32 v29, v62, v29
	v_add_f16_e32 v20, v20, v26
	v_fmamk_f16 v22, v4, 0x3a0c, v23
	v_fma_f16 v19, v58, 0xb93d, -v19
	v_fmac_f16_e32 v23, 0xba0c, v4
	v_fmamk_f16 v26, v58, 0x36a6, v21
	v_mul_f16_e32 v57, 0x36a6, v8
	v_fma_f16 v21, v58, 0x36a6, -v21
	v_add_f16_e32 v18, v19, v18
	v_add_f16_e32 v19, v23, v29
	;; [unrolled: 1-line block ×3, first 2 shown]
	v_mul_f16_e32 v26, 0xbbeb, v31
	v_mul_f16_e32 v8, 0xb08e, v8
	v_add_f16_e32 v22, v22, v24
	v_fmamk_f16 v24, v4, 0xbb47, v57
	v_add_f16_e32 v21, v21, v28
	v_fmamk_f16 v27, v58, 0xb08e, v26
	v_fmamk_f16 v28, v4, 0x3beb, v8
	v_fmac_f16_e32 v57, 0x3b47, v4
	v_fma_f16 v26, v58, 0xb08e, -v26
	v_fmac_f16_e32 v8, 0xbbeb, v4
	v_pack_b32_f16 v4, v13, v7
	v_pack_b32_f16 v5, v5, v6
	v_add_f16_e32 v24, v24, v25
	v_add_f16_e32 v6, v27, v32
	;; [unrolled: 1-line block ×6, first 2 shown]
	ds_store_2addr_b32 v36, v4, v5 offset1:66
	v_pack_b32_f16 v4, v12, v14
	v_pack_b32_f16 v5, v20, v22
	;; [unrolled: 1-line block ×9, first 2 shown]
	ds_store_2addr_b32 v36, v4, v5 offset0:132 offset1:198
	ds_store_2addr_b32 v1, v8, v6 offset0:8 offset1:74
	;; [unrolled: 1-line block ×4, first 2 shown]
	ds_store_b32 v36, v10 offset:2640
	global_wb scope:SCOPE_SE
	s_wait_dscnt 0x0
	s_barrier_signal -1
	s_barrier_wait -1
	global_inv scope:SCOPE_SE
	ds_load_2addr_b32 v[2:3], v36 offset1:66
	s_wait_dscnt 0x0
	v_lshrrev_b32_e32 v6, 16, v2
	s_delay_alu instid0(VALU_DEP_1) | instskip(NEXT) | instid1(VALU_DEP_1)
	v_mul_f16_e32 v4, v56, v6
	v_fmac_f16_e32 v4, v54, v2
	v_mul_f16_e32 v2, v56, v2
	s_delay_alu instid0(VALU_DEP_2) | instskip(NEXT) | instid1(VALU_DEP_2)
	v_cvt_f32_f16_e32 v4, v4
	v_fma_f16 v2, v54, v6, -v2
	s_delay_alu instid0(VALU_DEP_2) | instskip(NEXT) | instid1(VALU_DEP_2)
	v_cvt_f64_f32_e32 v[4:5], v4
	v_cvt_f32_f16_e32 v2, v2
	s_delay_alu instid0(VALU_DEP_1) | instskip(SKIP_1) | instid1(VALU_DEP_1)
	v_cvt_f64_f32_e32 v[6:7], v2
	v_lshrrev_b32_e32 v2, 16, v3
	v_mul_f16_e32 v8, v55, v2
	s_delay_alu instid0(VALU_DEP_1) | instskip(SKIP_1) | instid1(VALU_DEP_2)
	v_fmac_f16_e32 v8, v52, v3
	v_mul_f16_e32 v3, v55, v3
	v_cvt_f32_f16_e32 v8, v8
	s_delay_alu instid0(VALU_DEP_2) | instskip(NEXT) | instid1(VALU_DEP_2)
	v_fma_f16 v2, v52, v2, -v3
	v_cvt_f64_f32_e32 v[8:9], v8
	s_wait_alu 0xfffe
	v_mul_f64_e32 v[4:5], s[8:9], v[4:5]
	v_mul_f64_e32 v[6:7], s[8:9], v[6:7]
	s_delay_alu instid0(VALU_DEP_2) | instskip(SKIP_2) | instid1(VALU_DEP_3)
	v_and_or_b32 v4, 0x1ff, v5, v4
	v_lshrrev_b32_e32 v10, 8, v5
	v_bfe_u32 v11, v5, 20, 11
	v_cmp_ne_u32_e32 vcc_lo, 0, v4
	v_and_or_b32 v6, 0x1ff, v7, v6
	v_lshrrev_b32_e32 v13, 8, v7
	v_bfe_u32 v14, v7, 20, 11
	v_add_nc_u32_e32 v18, 0xfffffc10, v11
	s_wait_alu 0xfffd
	v_cndmask_b32_e64 v4, 0, 1, vcc_lo
	v_cmp_ne_u32_e32 vcc_lo, 0, v6
	v_lshrrev_b32_e32 v7, 16, v7
	v_add_nc_u32_e32 v22, 0xfffffc10, v14
	s_delay_alu instid0(VALU_DEP_4)
	v_and_or_b32 v17, 0xffe, v10, v4
	v_sub_nc_u32_e32 v4, 0x3f1, v11
	s_wait_alu 0xfffd
	v_cndmask_b32_e64 v6, 0, 1, vcc_lo
	v_cmp_gt_i32_e64 s1, 1, v22
	v_or_b32_e32 v10, 0x1000, v17
	v_med3_i32 v4, v4, 0, 13
	s_delay_alu instid0(VALU_DEP_4) | instskip(SKIP_2) | instid1(VALU_DEP_4)
	v_and_or_b32 v6, 0xffe, v13, v6
	v_sub_nc_u32_e32 v13, 0x3f1, v14
	v_lshl_or_b32 v11, v18, 12, v17
	v_lshrrev_b32_e32 v12, v4, v10
	s_delay_alu instid0(VALU_DEP_4) | instskip(NEXT) | instid1(VALU_DEP_4)
	v_or_b32_e32 v15, 0x1000, v6
	v_med3_i32 v13, v13, 0, 13
	s_delay_alu instid0(VALU_DEP_3) | instskip(NEXT) | instid1(VALU_DEP_2)
	v_lshlrev_b32_e32 v4, v4, v12
	v_lshrrev_b32_e32 v19, v13, v15
	s_delay_alu instid0(VALU_DEP_2)
	v_cmp_ne_u32_e32 vcc_lo, v4, v10
	v_cvt_f32_f16_e32 v10, v2
	v_mul_f64_e32 v[2:3], s[8:9], v[8:9]
	s_wait_alu 0xfffd
	v_cndmask_b32_e64 v4, 0, 1, vcc_lo
	v_cmp_gt_i32_e32 vcc_lo, 1, v18
	v_cvt_f64_f32_e32 v[8:9], v10
	s_delay_alu instid0(VALU_DEP_3) | instskip(SKIP_1) | instid1(VALU_DEP_1)
	v_or_b32_e32 v4, v12, v4
	s_wait_alu 0xfffd
	v_cndmask_b32_e32 v20, v11, v4, vcc_lo
	v_lshlrev_b32_e32 v4, v13, v19
	v_mad_co_u64_u32 v[10:11], null, s6, v16, 0
	ds_load_2addr_b32 v[12:13], v36 offset0:132 offset1:198
	v_and_b32_e32 v21, 7, v20
	v_cmp_ne_u32_e32 vcc_lo, v4, v15
	v_mov_b32_e32 v4, v11
	s_wait_alu 0xfffd
	v_cndmask_b32_e64 v15, 0, 1, vcc_lo
	v_cmp_lt_i32_e32 vcc_lo, 5, v21
	v_cmp_eq_u32_e64 s0, 3, v21
	s_delay_alu instid0(VALU_DEP_3)
	v_or_b32_e32 v11, v19, v15
	v_mad_co_u64_u32 v[14:15], null, s7, v16, v[4:5]
	v_lshrrev_b32_e32 v4, 2, v20
	v_lshl_or_b32 v19, v22, 12, v6
	s_or_b32 vcc_lo, s0, vcc_lo
	s_wait_alu 0xfffe
	s_delay_alu instid0(VALU_DEP_2) | instskip(NEXT) | instid1(VALU_DEP_2)
	v_add_co_ci_u32_e32 v4, vcc_lo, 0, v4, vcc_lo
	v_cndmask_b32_e64 v11, v19, v11, s1
	v_cmp_ne_u32_e32 vcc_lo, 0, v17
	s_wait_dscnt 0x0
	v_lshrrev_b32_e32 v17, 16, v12
	v_and_or_b32 v2, 0x1ff, v3, v2
	v_mul_f64_e32 v[8:9], s[8:9], v[8:9]
	v_and_b32_e32 v16, 7, v11
	s_wait_alu 0xfffd
	v_cndmask_b32_e64 v15, 0, 1, vcc_lo
	v_cmp_gt_i32_e32 vcc_lo, 31, v18
	v_lshrrev_b32_e32 v11, 2, v11
	v_lshrrev_b32_e32 v20, 8, v3
	v_cmp_eq_u32_e64 s0, 3, v16
	v_lshl_or_b32 v19, v15, 9, 0x7c00
	s_wait_alu 0xfffd
	v_cndmask_b32_e32 v4, 0x7c00, v4, vcc_lo
	v_cmp_lt_i32_e32 vcc_lo, 5, v16
	v_mul_f16_e32 v15, v53, v17
	v_bfe_u32 v21, v3, 20, 11
	s_or_b32 vcc_lo, s0, vcc_lo
	s_delay_alu instid0(VALU_DEP_2) | instskip(SKIP_3) | instid1(VALU_DEP_3)
	v_fmac_f16_e32 v15, v50, v12
	s_wait_alu 0xfffe
	v_add_co_ci_u32_e32 v11, vcc_lo, 0, v11, vcc_lo
	v_cmp_ne_u32_e32 vcc_lo, 0, v2
	v_cvt_f32_f16_e32 v15, v15
	s_wait_alu 0xfffd
	v_cndmask_b32_e64 v2, 0, 1, vcc_lo
	v_cmp_ne_u32_e32 vcc_lo, 0, v6
	s_delay_alu instid0(VALU_DEP_3) | instskip(NEXT) | instid1(VALU_DEP_3)
	v_cvt_f64_f32_e32 v[15:16], v15
	v_and_or_b32 v20, 0xffe, v20, v2
	s_wait_alu 0xfffd
	v_cndmask_b32_e64 v6, 0, 1, vcc_lo
	v_cmp_gt_i32_e32 vcc_lo, 31, v22
	v_sub_nc_u32_e32 v2, 0x3f1, v21
	v_or_b32_e32 v23, 0x1000, v20
	s_delay_alu instid0(VALU_DEP_4)
	v_lshl_or_b32 v6, v6, 9, 0x7c00
	s_wait_alu 0xfffd
	v_cndmask_b32_e32 v11, 0x7c00, v11, vcc_lo
	v_cmp_eq_u32_e32 vcc_lo, 0x40f, v18
	v_med3_i32 v2, v2, 0, 13
	v_and_or_b32 v8, 0x1ff, v9, v8
	s_wait_alu 0xfffd
	v_cndmask_b32_e32 v18, v4, v19, vcc_lo
	v_cmp_eq_u32_e32 vcc_lo, 0x40f, v22
	v_lshrrev_b32_e32 v19, 16, v5
	v_lshrrev_b32_e32 v22, v2, v23
	v_mad_co_u64_u32 v[4:5], null, s4, v49, 0
	s_wait_alu 0xfffd
	v_dual_cndmask_b32 v6, v11, v6 :: v_dual_mov_b32 v11, v14
	s_delay_alu instid0(VALU_DEP_3) | instskip(SKIP_1) | instid1(VALU_DEP_3)
	v_lshlrev_b32_e32 v14, v2, v22
	v_and_or_b32 v18, 0x8000, v19, v18
	v_and_or_b32 v19, 0x8000, v7, v6
	v_mul_f16_e32 v6, v53, v12
	v_mov_b32_e32 v2, v5
	v_cmp_ne_u32_e32 vcc_lo, v14, v23
	v_and_b32_e32 v18, 0xffff, v18
	v_lshlrev_b64_e32 v[10:11], 2, v[10:11]
	v_fma_f16 v12, v50, v17, -v6
	v_mad_co_u64_u32 v[5:6], null, s5, v49, v[2:3]
	s_wait_alu 0xfffd
	v_cndmask_b32_e64 v7, 0, 1, vcc_lo
	v_cmp_ne_u32_e32 vcc_lo, 0, v8
	v_cvt_f32_f16_e32 v6, v12
	v_add_nc_u32_e32 v17, 0xfffffc10, v21
	v_lshrrev_b32_e32 v12, 8, v9
	v_or_b32_e32 v2, v22, v7
	s_wait_alu 0xfffd
	v_cndmask_b32_e64 v8, 0, 1, vcc_lo
	v_cvt_f64_f32_e32 v[6:7], v6
	v_bfe_u32 v21, v9, 20, 11
	v_mul_f64_e32 v[14:15], s[8:9], v[15:16]
	v_lshl_or_b32 v16, v17, 12, v20
	v_and_or_b32 v8, 0xffe, v12, v8
	v_cmp_gt_i32_e32 vcc_lo, 1, v17
	v_sub_nc_u32_e32 v12, 0x3f1, v21
	v_lshl_or_b32 v18, v19, 16, v18
	v_lshrrev_b32_e32 v3, 16, v3
	v_lshlrev_b64_e32 v[4:5], 2, v[4:5]
	s_wait_alu 0xfffd
	v_cndmask_b32_e32 v2, v16, v2, vcc_lo
	v_or_b32_e32 v16, 0x1000, v8
	v_med3_i32 v12, v12, 0, 13
	v_add_co_u32 v23, vcc_lo, s2, v10
	s_delay_alu instid0(VALU_DEP_4)
	v_and_b32_e32 v19, 7, v2
	s_wait_alu 0xfffd
	v_add_co_ci_u32_e32 v24, vcc_lo, s3, v11, vcc_lo
	v_lshrrev_b32_e32 v22, v12, v16
	v_lshrrev_b32_e32 v2, 2, v2
	v_cmp_lt_i32_e32 vcc_lo, 5, v19
	v_cmp_eq_u32_e64 s0, 3, v19
	s_mul_u64 s[2:3], s[4:5], 0x108
	v_lshlrev_b32_e32 v10, v12, v22
	v_add_nc_u32_e32 v12, 0xfffffc10, v21
	s_delay_alu instid0(VALU_DEP_3) | instskip(NEXT) | instid1(VALU_DEP_2)
	s_or_b32 vcc_lo, s0, vcc_lo
	v_cmp_ne_u32_e64 s1, v10, v16
	s_wait_alu 0xfffe
	v_add_co_ci_u32_e32 v2, vcc_lo, 0, v2, vcc_lo
	v_lshrrev_b32_e32 v16, 16, v13
	v_cmp_ne_u32_e32 vcc_lo, 0, v20
	s_wait_alu 0xf1ff
	v_cndmask_b32_e64 v10, 0, 1, s1
	v_lshl_or_b32 v11, v12, 12, v8
	v_cmp_eq_u32_e64 s1, 0x40f, v17
	v_mul_f16_e32 v20, v51, v16
	s_wait_alu 0xfffd
	v_cndmask_b32_e64 v19, 0, 1, vcc_lo
	v_or_b32_e32 v10, v22, v10
	v_cmp_gt_i32_e32 vcc_lo, 1, v12
	v_mul_f64_e32 v[6:7], s[8:9], v[6:7]
	v_fmac_f16_e32 v20, v48, v13
	v_lshrrev_b32_e32 v22, 8, v15
	v_bfe_u32 v25, v15, 20, 11
	s_wait_alu 0xfffd
	v_cndmask_b32_e32 v21, v11, v10, vcc_lo
	v_and_or_b32 v10, 0x1ff, v15, v14
	v_cmp_gt_i32_e32 vcc_lo, 31, v17
	v_cvt_f32_f16_e32 v11, v20
	v_lshl_or_b32 v14, v19, 9, 0x7c00
	v_and_b32_e32 v19, 7, v21
	v_mul_f16_e32 v13, v51, v13
	s_wait_alu 0xfffd
	v_cndmask_b32_e32 v2, 0x7c00, v2, vcc_lo
	v_cmp_ne_u32_e32 vcc_lo, 0, v10
	v_cvt_f64_f32_e32 v[10:11], v11
	v_cmp_eq_u32_e64 s0, 3, v19
	v_lshrrev_b32_e32 v15, 16, v15
	s_wait_alu 0xf1ff
	v_cndmask_b32_e64 v2, v2, v14, s1
	s_wait_alu 0xfffd
	v_cndmask_b32_e64 v20, 0, 1, vcc_lo
	v_cmp_lt_i32_e32 vcc_lo, 5, v19
	v_lshrrev_b32_e32 v14, 2, v21
	s_delay_alu instid0(VALU_DEP_3)
	v_and_or_b32 v19, 0xffe, v22, v20
	v_sub_nc_u32_e32 v20, 0x3f1, v25
	s_or_b32 vcc_lo, s0, vcc_lo
	v_and_or_b32 v22, 0x8000, v3, v2
	s_wait_alu 0xfffe
	v_add_co_ci_u32_e32 v14, vcc_lo, 0, v14, vcc_lo
	v_or_b32_e32 v17, 0x1000, v19
	v_med3_i32 v20, v20, 0, 13
	v_cmp_ne_u32_e32 vcc_lo, 0, v8
	v_fma_f16 v3, v48, v16, -v13
	v_and_b32_e32 v22, 0xffff, v22
	s_delay_alu instid0(VALU_DEP_4)
	v_lshrrev_b32_e32 v21, v20, v17
	s_wait_alu 0xfffd
	v_cndmask_b32_e64 v8, 0, 1, vcc_lo
	v_cmp_gt_i32_e32 vcc_lo, 31, v12
	v_and_or_b32 v6, 0x1ff, v7, v6
	v_lshlrev_b32_e32 v2, v20, v21
	s_delay_alu instid0(VALU_DEP_4)
	v_lshl_or_b32 v8, v8, 9, 0x7c00
	s_wait_alu 0xfffd
	v_cndmask_b32_e32 v14, 0x7c00, v14, vcc_lo
	v_cmp_eq_u32_e32 vcc_lo, 0x40f, v12
	v_lshrrev_b32_e32 v13, 8, v7
	v_bfe_u32 v16, v7, 20, 11
	v_lshrrev_b32_e32 v20, 16, v9
	s_wait_alu 0xfffd
	v_cndmask_b32_e32 v12, v14, v8, vcc_lo
	v_cmp_ne_u32_e32 vcc_lo, v2, v17
	v_cvt_f32_f16_e32 v2, v3
	v_add_nc_u32_e32 v14, 0xfffffc10, v25
	v_mul_f64_e32 v[10:11], s[8:9], v[10:11]
	v_and_or_b32 v12, 0x8000, v20, v12
	s_wait_alu 0xfffd
	v_cndmask_b32_e64 v8, 0, 1, vcc_lo
	v_cmp_ne_u32_e32 vcc_lo, 0, v6
	v_cvt_f64_f32_e32 v[2:3], v2
	v_lshl_or_b32 v17, v14, 12, v19
	s_delay_alu instid0(VALU_DEP_4) | instskip(SKIP_3) | instid1(VALU_DEP_2)
	v_or_b32_e32 v8, v21, v8
	s_wait_alu 0xfffd
	v_cndmask_b32_e64 v6, 0, 1, vcc_lo
	v_cmp_gt_i32_e32 vcc_lo, 1, v14
	v_and_or_b32 v6, 0xffe, v13, v6
	v_sub_nc_u32_e32 v13, 0x3f1, v16
	s_wait_alu 0xfffd
	v_cndmask_b32_e32 v17, v17, v8, vcc_lo
	ds_load_2addr_b32 v[8:9], v1 offset0:8 offset1:74
	v_add_co_u32 v4, vcc_lo, v23, v4
	v_or_b32_e32 v21, 0x1000, v6
	v_med3_i32 v13, v13, 0, 13
	v_and_b32_e32 v23, 7, v17
	s_wait_alu 0xfffd
	v_add_co_ci_u32_e32 v5, vcc_lo, v24, v5, vcc_lo
	v_add_nc_u32_e32 v16, 0xfffffc10, v16
	v_lshrrev_b32_e32 v20, v13, v21
	v_cmp_lt_i32_e32 vcc_lo, 5, v23
	v_cmp_eq_u32_e64 s0, 3, v23
	global_store_b32 v[4:5], v18, off
	v_lshl_or_b32 v18, v12, 16, v22
	v_lshlrev_b32_e32 v13, v13, v20
	v_lshrrev_b32_e32 v12, 2, v17
	s_or_b32 vcc_lo, s0, vcc_lo
	s_delay_alu instid0(VALU_DEP_2) | instskip(SKIP_1) | instid1(VALU_DEP_2)
	v_cmp_ne_u32_e64 s1, v13, v21
	s_wait_alu 0xfffe
	v_add_co_ci_u32_e32 v12, vcc_lo, 0, v12, vcc_lo
	v_cmp_ne_u32_e32 vcc_lo, 0, v19
	s_wait_dscnt 0x0
	v_lshrrev_b32_e32 v17, 16, v8
	s_wait_alu 0xf1ff
	v_cndmask_b32_e64 v13, 0, 1, s1
	v_and_or_b32 v10, 0x1ff, v11, v10
	v_mul_f64_e32 v[2:3], s[8:9], v[2:3]
	s_wait_alu 0xfffd
	v_cndmask_b32_e64 v19, 0, 1, vcc_lo
	v_cmp_gt_i32_e32 vcc_lo, 1, v16
	v_or_b32_e32 v13, v20, v13
	v_lshl_or_b32 v20, v16, 12, v6
	v_mul_f16_e32 v21, v47, v17
	v_lshl_or_b32 v19, v19, 9, 0x7c00
	v_cmp_eq_u32_e64 s1, 0x40f, v14
	v_bfe_u32 v23, v11, 20, 11
	s_wait_alu 0xfffd
	v_cndmask_b32_e32 v20, v20, v13, vcc_lo
	v_cmp_gt_i32_e32 vcc_lo, 31, v14
	v_fmac_f16_e32 v21, v46, v8
	s_wait_alu 0xfffd
	v_cndmask_b32_e32 v22, 0x7c00, v12, vcc_lo
	v_cmp_ne_u32_e32 vcc_lo, 0, v10
	v_and_b32_e32 v12, 7, v20
	v_cvt_f32_f16_e32 v13, v21
	v_lshrrev_b32_e32 v21, 8, v11
	s_wait_alu 0xf1ff
	v_cndmask_b32_e64 v14, v22, v19, s1
	s_wait_alu 0xfffd
	v_cndmask_b32_e64 v10, 0, 1, vcc_lo
	v_cmp_lt_i32_e32 vcc_lo, 5, v12
	v_cmp_eq_u32_e64 s0, 3, v12
	v_cvt_f64_f32_e32 v[12:13], v13
	v_lshrrev_b32_e32 v19, 2, v20
	v_and_or_b32 v10, 0xffe, v21, v10
	v_sub_nc_u32_e32 v21, 0x3f1, v23
	s_or_b32 vcc_lo, s0, vcc_lo
	v_and_or_b32 v14, 0x8000, v15, v14
	s_wait_alu 0xfffe
	v_add_co_ci_u32_e32 v19, vcc_lo, 0, v19, vcc_lo
	v_or_b32_e32 v20, 0x1000, v10
	v_med3_i32 v21, v21, 0, 13
	v_cmp_ne_u32_e32 vcc_lo, 0, v6
	v_and_b32_e32 v14, 0xffff, v14
	v_lshrrev_b32_e32 v11, 16, v11
	s_delay_alu instid0(VALU_DEP_4)
	v_lshrrev_b32_e32 v22, v21, v20
	s_wait_alu 0xfffd
	v_cndmask_b32_e64 v6, 0, 1, vcc_lo
	v_cmp_gt_i32_e32 vcc_lo, 31, v16
	v_and_or_b32 v2, 0x1ff, v3, v2
	v_lshlrev_b32_e32 v15, v21, v22
	s_delay_alu instid0(VALU_DEP_4) | instskip(SKIP_4) | instid1(VALU_DEP_2)
	v_lshl_or_b32 v6, v6, 9, 0x7c00
	s_wait_alu 0xfffd
	v_cndmask_b32_e32 v19, 0x7c00, v19, vcc_lo
	v_cmp_eq_u32_e32 vcc_lo, 0x40f, v16
	s_wait_alu 0xfffd
	v_cndmask_b32_e32 v16, v19, v6, vcc_lo
	v_mul_f16_e32 v6, v47, v8
	v_cmp_ne_u32_e32 vcc_lo, v15, v20
	v_lshrrev_b32_e32 v19, 16, v7
	v_lshrrev_b32_e32 v8, 8, v3
	v_add_nc_u32_e32 v20, 0xfffffc10, v23
	v_fma_f16 v6, v46, v17, -v6
	s_wait_alu 0xfffd
	v_cndmask_b32_e64 v7, 0, 1, vcc_lo
	v_cmp_ne_u32_e32 vcc_lo, 0, v2
	v_bfe_u32 v17, v3, 20, 11
	v_and_or_b32 v16, 0x8000, v19, v16
	v_cvt_f32_f16_e32 v21, v6
	v_or_b32_e32 v15, v22, v7
	s_wait_alu 0xfffd
	v_cndmask_b32_e64 v2, 0, 1, vcc_lo
	v_mul_f64_e32 v[6:7], s[8:9], v[12:13]
	v_lshl_or_b32 v22, v20, 12, v10
	v_cvt_f64_f32_e32 v[12:13], v21
	v_cmp_gt_i32_e32 vcc_lo, 1, v20
	v_and_or_b32 v2, 0xffe, v8, v2
	v_sub_nc_u32_e32 v8, 0x3f1, v17
	v_lshl_or_b32 v23, v16, 16, v14
	s_wait_alu 0xfffd
	v_cndmask_b32_e32 v19, v22, v15, vcc_lo
	v_or_b32_e32 v21, 0x1000, v2
	v_med3_i32 v8, v8, 0, 13
	v_add_co_u32 v4, vcc_lo, v4, s2
	s_wait_alu 0xfffd
	v_add_co_ci_u32_e32 v5, vcc_lo, s3, v5, vcc_lo
	s_delay_alu instid0(VALU_DEP_3)
	v_lshrrev_b32_e32 v22, v8, v21
	v_and_b32_e32 v16, 7, v19
	v_add_co_u32 v14, vcc_lo, v4, s2
	s_wait_alu 0xfffd
	v_add_co_ci_u32_e32 v15, vcc_lo, s3, v5, vcc_lo
	v_lshlrev_b32_e32 v8, v8, v22
	v_cmp_lt_i32_e32 vcc_lo, 5, v16
	v_cmp_eq_u32_e64 s0, 3, v16
	v_lshrrev_b32_e32 v16, 2, v19
	v_add_nc_u32_e32 v19, 0xfffffc10, v17
	v_cmp_ne_u32_e64 s1, v8, v21
	v_lshrrev_b32_e32 v21, 16, v9
	s_or_b32 vcc_lo, s0, vcc_lo
	s_wait_alu 0xfffe
	v_add_co_ci_u32_e32 v16, vcc_lo, 0, v16, vcc_lo
	v_cndmask_b32_e64 v8, 0, 1, s1
	v_cmp_ne_u32_e32 vcc_lo, 0, v10
	v_lshl_or_b32 v17, v19, 12, v2
	s_delay_alu instid0(VALU_DEP_3)
	v_or_b32_e32 v8, v22, v8
	v_mul_f16_e32 v22, v45, v21
	s_wait_alu 0xfffd
	v_cndmask_b32_e64 v10, 0, 1, vcc_lo
	v_cmp_gt_i32_e32 vcc_lo, 1, v19
	v_and_or_b32 v6, 0x1ff, v7, v6
	v_mul_f64_e32 v[12:13], s[8:9], v[12:13]
	v_fmac_f16_e32 v22, v44, v9
	v_lshl_or_b32 v10, v10, 9, 0x7c00
	s_wait_alu 0xfffd
	v_cndmask_b32_e32 v8, v17, v8, vcc_lo
	v_cmp_gt_i32_e32 vcc_lo, 31, v20
	v_lshrrev_b32_e32 v25, 8, v7
	v_bfe_u32 v26, v7, 20, 11
	v_mul_f16_e32 v9, v45, v9
	s_wait_alu 0xfffd
	v_cndmask_b32_e32 v24, 0x7c00, v16, vcc_lo
	v_cvt_f32_f16_e32 v16, v22
	v_cmp_ne_u32_e32 vcc_lo, 0, v6
	v_and_b32_e32 v22, 7, v8
	v_lshrrev_b32_e32 v8, 2, v8
	v_fma_f16 v9, v44, v21, -v9
	v_cvt_f64_f32_e32 v[16:17], v16
	s_wait_alu 0xfffd
	v_cndmask_b32_e64 v6, 0, 1, vcc_lo
	v_cmp_eq_u32_e32 vcc_lo, 0x40f, v20
	v_cmp_eq_u32_e64 s0, 3, v22
	v_sub_nc_u32_e32 v20, 0x3f1, v26
	v_cvt_f32_f16_e32 v9, v9
	v_and_or_b32 v6, 0xffe, v25, v6
	s_wait_alu 0xfffd
	v_cndmask_b32_e32 v10, v24, v10, vcc_lo
	v_cmp_lt_i32_e32 vcc_lo, 5, v22
	v_med3_i32 v20, v20, 0, 13
	v_or_b32_e32 v22, 0x1000, v6
	s_delay_alu instid0(VALU_DEP_4)
	v_and_or_b32 v25, 0x8000, v11, v10
	s_or_b32 vcc_lo, s0, vcc_lo
	s_wait_alu 0xfffe
	v_add_co_ci_u32_e32 v8, vcc_lo, 0, v8, vcc_lo
	v_cmp_ne_u32_e32 vcc_lo, 0, v2
	v_lshrrev_b32_e32 v21, v20, v22
	s_wait_alu 0xfffd
	v_cndmask_b32_e64 v2, 0, 1, vcc_lo
	v_cmp_gt_i32_e32 vcc_lo, 31, v19
	s_delay_alu instid0(VALU_DEP_3) | instskip(SKIP_1) | instid1(VALU_DEP_4)
	v_lshlrev_b32_e32 v10, v20, v21
	v_bfe_u32 v27, v13, 20, 11
	v_lshl_or_b32 v2, v2, 9, 0x7c00
	s_wait_alu 0xfffd
	v_cndmask_b32_e32 v24, 0x7c00, v8, vcc_lo
	v_cvt_f64_f32_e32 v[8:9], v9
	v_cmp_eq_u32_e32 vcc_lo, 0x40f, v19
	s_wait_alu 0xfffd
	s_delay_alu instid0(VALU_DEP_3)
	v_cndmask_b32_e32 v19, v24, v2, vcc_lo
	v_and_or_b32 v2, 0x1ff, v13, v12
	v_cmp_ne_u32_e32 vcc_lo, v10, v22
	v_lshrrev_b32_e32 v12, 16, v3
	v_add_nc_u32_e32 v22, 0xfffffc10, v26
	v_lshrrev_b32_e32 v26, 8, v13
	ds_load_2addr_b32 v[10:11], v1 offset0:140 offset1:206
	s_wait_alu 0xfffd
	v_cndmask_b32_e64 v20, 0, 1, vcc_lo
	v_cmp_ne_u32_e32 vcc_lo, 0, v2
	v_mul_f64_e32 v[2:3], s[8:9], v[16:17]
	v_and_or_b32 v1, 0x8000, v12, v19
	v_lshl_or_b32 v16, v22, 12, v6
	v_or_b32_e32 v12, v21, v20
	s_wait_alu 0xfffd
	v_cndmask_b32_e64 v24, 0, 1, vcc_lo
	v_sub_nc_u32_e32 v19, 0x3f1, v27
	v_cmp_gt_i32_e32 vcc_lo, 1, v22
	v_and_b32_e32 v20, 0xffff, v25
	s_clause 0x1
	global_store_b32 v[4:5], v18, off
	global_store_b32 v[14:15], v23, off
	v_and_or_b32 v17, 0xffe, v26, v24
	v_med3_i32 v19, v19, 0, 13
	s_wait_alu 0xfffd
	v_cndmask_b32_e32 v12, v16, v12, vcc_lo
	v_lshl_or_b32 v18, v1, 16, v20
	v_add_co_u32 v4, vcc_lo, v14, s2
	v_or_b32_e32 v16, 0x1000, v17
	s_delay_alu instid0(VALU_DEP_4)
	v_and_b32_e32 v1, 7, v12
	s_wait_alu 0xfffd
	v_add_co_ci_u32_e32 v5, vcc_lo, s3, v15, vcc_lo
	v_lshrrev_b32_e32 v12, 2, v12
	v_lshrrev_b32_e32 v20, v19, v16
	v_cmp_lt_i32_e32 vcc_lo, 5, v1
	v_cmp_eq_u32_e64 s0, 3, v1
	v_mul_f64_e32 v[8:9], s[8:9], v[8:9]
	s_wait_dscnt 0x0
	v_lshrrev_b32_e32 v14, 16, v10
	v_lshlrev_b32_e32 v15, v19, v20
	v_lshrrev_b32_e32 v13, 16, v13
	s_or_b32 vcc_lo, s0, vcc_lo
	global_store_b32 v[4:5], v18, off
	s_wait_alu 0xfffe
	v_add_co_ci_u32_e32 v12, vcc_lo, 0, v12, vcc_lo
	v_cmp_ne_u32_e64 s1, v15, v16
	v_add_nc_u32_e32 v16, 0xfffffc10, v27
	v_cmp_ne_u32_e32 vcc_lo, 0, v6
	v_mul_f16_e32 v1, v43, v14
	s_wait_alu 0xf1ff
	v_cndmask_b32_e64 v15, 0, 1, s1
	v_lshl_or_b32 v19, v16, 12, v17
	s_wait_alu 0xfffd
	v_cndmask_b32_e64 v6, 0, 1, vcc_lo
	v_cmp_gt_i32_e32 vcc_lo, 1, v16
	v_fmac_f16_e32 v1, v42, v10
	v_or_b32_e32 v15, v20, v15
	v_and_or_b32 v20, 0x1ff, v3, v2
	v_bfe_u32 v21, v3, 20, 11
	v_lshl_or_b32 v6, v6, 9, 0x7c00
	v_cvt_f32_f16_e32 v1, v1
	s_wait_alu 0xfffd
	v_cndmask_b32_e32 v15, v19, v15, vcc_lo
	v_cmp_ne_u32_e32 vcc_lo, 0, v20
	v_lshrrev_b32_e32 v20, 8, v3
	v_mul_f16_e32 v10, v43, v10
	v_cvt_f64_f32_e32 v[1:2], v1
	v_and_b32_e32 v23, 7, v15
	s_wait_alu 0xfffd
	v_cndmask_b32_e64 v19, 0, 1, vcc_lo
	v_cmp_gt_i32_e32 vcc_lo, 31, v22
	v_fma_f16 v10, v42, v14, -v10
	v_lshrrev_b32_e32 v3, 16, v3
	v_cmp_eq_u32_e64 s0, 3, v23
	v_and_or_b32 v19, 0xffe, v20, v19
	s_wait_alu 0xfffd
	v_cndmask_b32_e32 v12, 0x7c00, v12, vcc_lo
	v_sub_nc_u32_e32 v20, 0x3f1, v21
	v_cmp_eq_u32_e32 vcc_lo, 0x40f, v22
	v_lshrrev_b32_e32 v22, 16, v7
	v_lshrrev_b32_e32 v7, 2, v15
	v_and_or_b32 v8, 0x1ff, v9, v8
	v_med3_i32 v20, v20, 0, 13
	s_wait_alu 0xfffd
	v_cndmask_b32_e32 v12, v12, v6, vcc_lo
	v_or_b32_e32 v6, 0x1000, v19
	v_cmp_lt_i32_e32 vcc_lo, 5, v23
	v_lshrrev_b32_e32 v14, 8, v9
	s_delay_alu instid0(VALU_DEP_4) | instskip(NEXT) | instid1(VALU_DEP_4)
	v_and_or_b32 v12, 0x8000, v22, v12
	v_lshrrev_b32_e32 v15, v20, v6
	s_or_b32 vcc_lo, s0, vcc_lo
	s_wait_alu 0xfffe
	v_add_co_ci_u32_e32 v23, vcc_lo, 0, v7, vcc_lo
	s_delay_alu instid0(VALU_DEP_2)
	v_lshlrev_b32_e32 v7, v20, v15
	v_cmp_ne_u32_e32 vcc_lo, 0, v8
	v_bfe_u32 v20, v9, 20, 11
	s_wait_alu 0xfffd
	v_cndmask_b32_e64 v8, 0, 1, vcc_lo
	v_cmp_ne_u32_e32 vcc_lo, v7, v6
	v_cvt_f32_f16_e32 v6, v10
	v_add_nc_u32_e32 v10, 0xfffffc10, v21
	s_delay_alu instid0(VALU_DEP_4)
	v_and_or_b32 v8, 0xffe, v14, v8
	s_wait_alu 0xfffd
	v_cndmask_b32_e64 v24, 0, 1, vcc_lo
	v_cmp_ne_u32_e32 vcc_lo, 0, v17
	v_sub_nc_u32_e32 v14, 0x3f1, v20
	v_mul_f64_e32 v[1:2], s[8:9], v[1:2]
	v_lshl_or_b32 v21, v10, 12, v19
	v_or_b32_e32 v15, v15, v24
	s_wait_alu 0xfffd
	v_cndmask_b32_e64 v17, 0, 1, vcc_lo
	v_cmp_gt_i32_e32 vcc_lo, 31, v16
	v_or_b32_e32 v24, 0x1000, v8
	v_med3_i32 v14, v14, 0, 13
	v_cvt_f64_f32_e32 v[6:7], v6
	v_lshl_or_b32 v17, v17, 9, 0x7c00
	s_wait_alu 0xfffd
	v_cndmask_b32_e32 v23, 0x7c00, v23, vcc_lo
	v_cmp_gt_i32_e32 vcc_lo, 1, v10
	s_wait_alu 0xfffd
	v_cndmask_b32_e32 v15, v21, v15, vcc_lo
	v_lshrrev_b32_e32 v21, v14, v24
	v_cmp_eq_u32_e32 vcc_lo, 0x40f, v16
	s_delay_alu instid0(VALU_DEP_2) | instskip(SKIP_2) | instid1(VALU_DEP_2)
	v_lshlrev_b32_e32 v14, v14, v21
	s_wait_alu 0xfffd
	v_dual_cndmask_b32 v16, v23, v17 :: v_dual_and_b32 v17, 7, v15
	v_cmp_ne_u32_e64 s0, v14, v24
	s_delay_alu instid0(VALU_DEP_2) | instskip(NEXT) | instid1(VALU_DEP_3)
	v_and_or_b32 v16, 0x8000, v13, v16
	v_cmp_lt_i32_e32 vcc_lo, 5, v17
	v_add_nc_u32_e32 v14, 0xfffffc10, v20
	s_wait_alu 0xf1ff
	v_cndmask_b32_e64 v13, 0, 1, s0
	v_cmp_eq_u32_e64 s0, 3, v17
	v_and_b32_e32 v17, 0xffff, v12
	v_lshrrev_b32_e32 v12, 2, v15
	v_lshl_or_b32 v15, v14, 12, v8
	v_or_b32_e32 v13, v21, v13
	s_or_b32 vcc_lo, s0, vcc_lo
	v_and_or_b32 v1, 0x1ff, v2, v1
	s_wait_alu 0xfffe
	v_add_co_ci_u32_e32 v12, vcc_lo, 0, v12, vcc_lo
	v_cmp_ne_u32_e32 vcc_lo, 0, v19
	v_lshrrev_b32_e32 v19, 16, v11
	v_lshrrev_b32_e32 v21, 8, v2
	v_bfe_u32 v22, v2, 20, 11
	v_mul_f64_e32 v[6:7], s[8:9], v[6:7]
	s_wait_alu 0xfffd
	v_cndmask_b32_e64 v18, 0, 1, vcc_lo
	v_cmp_gt_i32_e32 vcc_lo, 1, v14
	v_lshl_or_b32 v16, v16, 16, v17
	v_lshrrev_b32_e32 v2, 16, v2
	s_delay_alu instid0(VALU_DEP_4) | instskip(SKIP_4) | instid1(VALU_DEP_3)
	v_lshl_or_b32 v18, v18, 9, 0x7c00
	s_wait_alu 0xfffd
	v_cndmask_b32_e32 v15, v15, v13, vcc_lo
	v_cmp_gt_i32_e32 vcc_lo, 31, v10
	v_mul_f16_e32 v13, v41, v19
	v_and_b32_e32 v20, 7, v15
	s_wait_alu 0xfffd
	v_cndmask_b32_e32 v12, 0x7c00, v12, vcc_lo
	v_cmp_ne_u32_e32 vcc_lo, 0, v1
	v_fmac_f16_e32 v13, v40, v11
	v_lshrrev_b32_e32 v15, 2, v15
	v_cmp_eq_u32_e64 s0, 3, v20
	s_wait_alu 0xfffd
	v_cndmask_b32_e64 v1, 0, 1, vcc_lo
	v_cmp_eq_u32_e32 vcc_lo, 0x40f, v10
	s_wait_alu 0xfffd
	v_cndmask_b32_e32 v10, v12, v18, vcc_lo
	v_cvt_f32_f16_e32 v12, v13
	v_cmp_lt_i32_e32 vcc_lo, 5, v20
	v_and_or_b32 v18, 0xffe, v21, v1
	v_sub_nc_u32_e32 v1, 0x3f1, v22
	v_and_or_b32 v3, 0x8000, v3, v10
	v_cvt_f64_f32_e32 v[12:13], v12
	s_or_b32 vcc_lo, s0, vcc_lo
	v_or_b32_e32 v20, 0x1000, v18
	s_wait_alu 0xfffe
	v_add_co_ci_u32_e32 v15, vcc_lo, 0, v15, vcc_lo
	v_cmp_ne_u32_e32 vcc_lo, 0, v8
	v_med3_i32 v1, v1, 0, 13
	v_mul_f16_e32 v10, v41, v11
	v_and_or_b32 v6, 0x1ff, v7, v6
	s_wait_alu 0xfffd
	v_cndmask_b32_e64 v8, 0, 1, vcc_lo
	v_cmp_gt_i32_e32 vcc_lo, 31, v14
	v_lshrrev_b32_e32 v21, v1, v20
	s_delay_alu instid0(VALU_DEP_3) | instskip(SKIP_4) | instid1(VALU_DEP_2)
	v_lshl_or_b32 v8, v8, 9, 0x7c00
	s_wait_alu 0xfffd
	v_cndmask_b32_e32 v15, 0x7c00, v15, vcc_lo
	v_cmp_eq_u32_e32 vcc_lo, 0x40f, v14
	s_wait_alu 0xfffd
	v_dual_cndmask_b32 v14, v15, v8 :: v_dual_lshlrev_b32 v1, v1, v21
	v_fma_f16 v8, v40, v19, -v10
	s_delay_alu instid0(VALU_DEP_2)
	v_cmp_ne_u32_e32 vcc_lo, v1, v20
	v_lshrrev_b32_e32 v15, 16, v9
	v_add_nc_u32_e32 v19, 0xfffffc10, v22
	v_lshrrev_b32_e32 v10, 8, v7
	v_cvt_f32_f16_e32 v8, v8
	s_wait_alu 0xfffd
	v_cndmask_b32_e64 v1, 0, 1, vcc_lo
	v_cmp_ne_u32_e32 vcc_lo, 0, v6
	v_bfe_u32 v20, v7, 20, 11
	v_cvt_f64_f32_e32 v[8:9], v8
	s_delay_alu instid0(VALU_DEP_4)
	v_or_b32_e32 v11, v21, v1
	s_wait_alu 0xfffd
	v_cndmask_b32_e64 v6, 0, 1, vcc_lo
	v_lshl_or_b32 v21, v19, 12, v18
	v_cmp_gt_i32_e32 vcc_lo, 1, v19
	ds_load_2addr_b32 v[0:1], v0 offset0:16 offset1:82
	v_and_or_b32 v22, 0xffe, v10, v6
	v_sub_nc_u32_e32 v6, 0x3f1, v20
	s_wait_alu 0xfffd
	v_cndmask_b32_e32 v21, v21, v11, vcc_lo
	v_mul_f64_e32 v[10:11], s[8:9], v[12:13]
	v_and_or_b32 v13, 0x8000, v15, v14
	v_or_b32_e32 v12, 0x1000, v22
	v_med3_i32 v6, v6, 0, 13
	v_and_b32_e32 v14, 0xffff, v3
	v_add_co_u32 v3, vcc_lo, v4, s2
	v_and_b32_e32 v15, 7, v21
	s_delay_alu instid0(VALU_DEP_4)
	v_lshrrev_b32_e32 v17, v6, v12
	s_wait_alu 0xfffd
	v_add_co_ci_u32_e32 v4, vcc_lo, s3, v5, vcc_lo
	v_lshl_or_b32 v14, v13, 16, v14
	v_cmp_lt_i32_e32 vcc_lo, 5, v15
	v_lshlrev_b32_e32 v5, v6, v17
	v_cmp_eq_u32_e64 s0, 3, v15
	s_wait_dscnt 0x0
	v_lshrrev_b32_e32 v15, 16, v0
	v_lshrrev_b32_e32 v6, 2, v21
	v_add_nc_u32_e32 v20, 0xfffffc10, v20
	v_cmp_ne_u32_e64 s1, v5, v12
	s_or_b32 vcc_lo, s0, vcc_lo
	v_mul_f16_e32 v12, v39, v15
	s_wait_alu 0xfffe
	v_add_co_ci_u32_e32 v13, vcc_lo, 0, v6, vcc_lo
	v_cndmask_b32_e64 v5, 0, 1, s1
	v_cmp_ne_u32_e32 vcc_lo, 0, v18
	v_fmac_f16_e32 v12, v38, v0
	v_lshl_or_b32 v21, v20, 12, v22
	v_mul_f16_e32 v0, v39, v0
	v_or_b32_e32 v17, v17, v5
	v_mul_f64_e32 v[5:6], s[8:9], v[8:9]
	s_wait_alu 0xfffd
	v_cndmask_b32_e64 v18, 0, 1, vcc_lo
	v_cmp_gt_i32_e32 vcc_lo, 1, v20
	v_cvt_f32_f16_e32 v8, v12
	v_fma_f16 v0, v38, v15, -v0
	s_delay_alu instid0(VALU_DEP_4)
	v_lshl_or_b32 v18, v18, 9, 0x7c00
	s_wait_alu 0xfffd
	v_cndmask_b32_e32 v17, v21, v17, vcc_lo
	v_cmp_gt_i32_e32 vcc_lo, 31, v19
	v_and_or_b32 v10, 0x1ff, v11, v10
	v_cvt_f64_f32_e32 v[8:9], v8
	v_cvt_f32_f16_e32 v0, v0
	v_and_b32_e32 v23, 7, v17
	s_wait_alu 0xfffd
	v_cndmask_b32_e32 v21, 0x7c00, v13, vcc_lo
	v_add_co_u32 v12, vcc_lo, v3, s2
	s_wait_alu 0xfffd
	v_add_co_ci_u32_e32 v13, vcc_lo, s3, v4, vcc_lo
	v_cmp_eq_u32_e32 vcc_lo, 0x40f, v19
	v_cmp_ne_u32_e64 s0, 0, v10
	v_lshrrev_b32_e32 v17, 2, v17
	v_lshrrev_b32_e32 v19, 8, v11
	global_store_b32 v[3:4], v16, off
	global_store_b32 v[12:13], v14, off
	s_wait_alu 0xfffd
	v_cndmask_b32_e32 v18, v21, v18, vcc_lo
	v_cmp_lt_i32_e32 vcc_lo, 5, v23
	s_wait_alu 0xf1ff
	v_cndmask_b32_e64 v10, 0, 1, s0
	v_cmp_eq_u32_e64 s0, 3, v23
	v_bfe_u32 v21, v11, 20, 11
	v_and_or_b32 v2, 0x8000, v2, v18
	v_lshrrev_b32_e32 v11, 16, v11
	v_and_or_b32 v19, 0xffe, v19, v10
	s_or_b32 vcc_lo, s0, vcc_lo
	v_sub_nc_u32_e32 v10, 0x3f1, v21
	s_wait_alu 0xfffe
	v_add_co_ci_u32_e32 v17, vcc_lo, 0, v17, vcc_lo
	v_cmp_ne_u32_e32 vcc_lo, 0, v22
	v_or_b32_e32 v23, 0x1000, v19
	v_med3_i32 v10, v10, 0, 13
	v_and_or_b32 v5, 0x1ff, v6, v5
	v_bfe_u32 v24, v6, 20, 11
	s_wait_alu 0xfffd
	v_cndmask_b32_e64 v22, 0, 1, vcc_lo
	v_cmp_gt_i32_e32 vcc_lo, 31, v20
	v_lshrrev_b32_e32 v18, v10, v23
	v_add_nc_u32_e32 v15, 0xfffffc10, v21
	v_and_b32_e32 v2, 0xffff, v2
	v_lshl_or_b32 v22, v22, 9, 0x7c00
	s_wait_alu 0xfffd
	v_cndmask_b32_e32 v17, 0x7c00, v17, vcc_lo
	v_cmp_eq_u32_e32 vcc_lo, 0x40f, v20
	v_lshlrev_b32_e32 v10, v10, v18
	v_lshrrev_b32_e32 v20, 16, v7
	v_mul_f64_e32 v[7:8], s[8:9], v[8:9]
	v_cmp_eq_u32_e64 s1, 0x40f, v15
	s_wait_alu 0xfffd
	v_cndmask_b32_e32 v17, v17, v22, vcc_lo
	v_cmp_ne_u32_e32 vcc_lo, 0, v5
	v_lshrrev_b32_e32 v22, 8, v6
	v_lshrrev_b32_e32 v6, 16, v6
	s_wait_alu 0xfffd
	v_cndmask_b32_e64 v5, 0, 1, vcc_lo
	v_cmp_ne_u32_e32 vcc_lo, v10, v23
	s_delay_alu instid0(VALU_DEP_2)
	v_and_or_b32 v21, 0xffe, v22, v5
	s_wait_alu 0xfffd
	v_cndmask_b32_e64 v9, 0, 1, vcc_lo
	v_sub_nc_u32_e32 v5, 0x3f1, v24
	v_lshl_or_b32 v22, v15, 12, v19
	v_cmp_gt_i32_e32 vcc_lo, 1, v15
	v_or_b32_e32 v23, 0x1000, v21
	v_or_b32_e32 v18, v18, v9
	v_med3_i32 v5, v5, 0, 13
	v_cvt_f64_f32_e32 v[9:10], v0
	v_and_or_b32 v0, 0x8000, v20, v17
	s_wait_alu 0xfffd
	v_cndmask_b32_e32 v17, v22, v18, vcc_lo
	v_lshrrev_b32_e32 v18, v5, v23
	s_delay_alu instid0(VALU_DEP_3) | instskip(SKIP_1) | instid1(VALU_DEP_3)
	v_lshl_or_b32 v14, v0, 16, v2
	v_add_co_u32 v2, vcc_lo, v12, s2
	v_lshlrev_b32_e32 v4, v5, v18
	v_and_b32_e32 v0, 7, v17
	s_wait_alu 0xfffd
	v_add_co_ci_u32_e32 v3, vcc_lo, s3, v13, vcc_lo
	v_lshrrev_b32_e32 v12, 16, v1
	v_cmp_ne_u32_e64 s0, v4, v23
	v_cmp_lt_i32_e32 vcc_lo, 5, v0
	v_add_nc_u32_e32 v13, 0xfffffc10, v24
	v_and_or_b32 v7, 0x1ff, v8, v7
	v_mul_f16_e32 v5, v37, v12
	s_wait_alu 0xf1ff
	v_cndmask_b32_e64 v4, 0, 1, s0
	v_cmp_eq_u32_e64 s0, 3, v0
	v_lshrrev_b32_e32 v0, 2, v17
	v_lshl_or_b32 v16, v13, 12, v21
	v_fmac_f16_e32 v5, v35, v1
	v_or_b32_e32 v4, v18, v4
	s_or_b32 vcc_lo, s0, vcc_lo
	v_lshrrev_b32_e32 v17, 8, v8
	s_wait_alu 0xfffe
	v_add_co_ci_u32_e32 v0, vcc_lo, 0, v0, vcc_lo
	v_cmp_gt_i32_e32 vcc_lo, 1, v13
	v_cvt_f32_f16_e32 v5, v5
	v_bfe_u32 v18, v8, 20, 11
	s_wait_alu 0xfffd
	v_cndmask_b32_e32 v16, v16, v4, vcc_lo
	v_cmp_ne_u32_e32 vcc_lo, 0, v7
	v_cvt_f64_f32_e32 v[4:5], v5
	v_mul_f64_e32 v[9:10], s[8:9], v[9:10]
	s_delay_alu instid0(VALU_DEP_4)
	v_and_b32_e32 v20, 7, v16
	s_wait_alu 0xfffd
	v_cndmask_b32_e64 v7, 0, 1, vcc_lo
	v_cmp_ne_u32_e32 vcc_lo, 0, v19
	v_lshrrev_b32_e32 v16, 2, v16
	v_cmp_eq_u32_e64 s0, 3, v20
	s_delay_alu instid0(VALU_DEP_4)
	v_and_or_b32 v7, 0xffe, v17, v7
	s_wait_alu 0xfffd
	v_cndmask_b32_e64 v19, 0, 1, vcc_lo
	v_cmp_gt_i32_e32 vcc_lo, 31, v15
	v_sub_nc_u32_e32 v17, 0x3f1, v18
	v_or_b32_e32 v22, 0x1000, v7
	s_delay_alu instid0(VALU_DEP_4) | instskip(SKIP_4) | instid1(VALU_DEP_3)
	v_lshl_or_b32 v19, v19, 9, 0x7c00
	s_wait_alu 0xfffd
	v_cndmask_b32_e32 v0, 0x7c00, v0, vcc_lo
	v_cmp_lt_i32_e32 vcc_lo, 5, v20
	v_med3_i32 v17, v17, 0, 13
	v_cndmask_b32_e64 v0, v0, v19, s1
	s_or_b32 vcc_lo, s0, vcc_lo
	s_delay_alu instid0(VALU_DEP_2)
	v_lshrrev_b32_e32 v15, v17, v22
	s_wait_alu 0xfffe
	v_add_co_ci_u32_e32 v16, vcc_lo, 0, v16, vcc_lo
	v_cmp_ne_u32_e32 vcc_lo, 0, v21
	v_and_or_b32 v11, 0x8000, v11, v0
	v_lshlrev_b32_e32 v17, v17, v15
	s_wait_alu 0xfffd
	v_cndmask_b32_e64 v19, 0, 1, vcc_lo
	v_cmp_gt_i32_e32 vcc_lo, 31, v13
	v_and_b32_e32 v11, 0xffff, v11
	s_delay_alu instid0(VALU_DEP_3)
	v_lshl_or_b32 v19, v19, 9, 0x7c00
	s_wait_alu 0xfffd
	v_cndmask_b32_e32 v16, 0x7c00, v16, vcc_lo
	v_cmp_ne_u32_e32 vcc_lo, v17, v22
	ds_load_b32 v17, v36 offset:2640
	s_wait_alu 0xfffd
	v_cndmask_b32_e64 v0, 0, 1, vcc_lo
	v_cmp_eq_u32_e32 vcc_lo, 0x40f, v13
	s_delay_alu instid0(VALU_DEP_2)
	v_or_b32_e32 v15, v15, v0
	s_wait_alu 0xfffd
	v_dual_cndmask_b32 v13, v16, v19 :: v_dual_add_nc_u32 v16, 0xfffffc10, v18
	v_mul_f16_e32 v18, v37, v1
	v_mul_f64_e32 v[0:1], s[8:9], v[4:5]
	v_and_or_b32 v5, 0x1ff, v10, v9
	s_delay_alu instid0(VALU_DEP_4)
	v_and_or_b32 v6, 0x8000, v6, v13
	v_lshl_or_b32 v4, v16, 12, v7
	v_fma_f16 v9, v35, v12, -v18
	v_cmp_gt_i32_e32 vcc_lo, 1, v16
	v_bfe_u32 v18, v10, 20, 11
	s_wait_dscnt 0x0
	v_lshrrev_b32_e32 v19, 16, v17
	s_wait_alu 0xfffd
	v_cndmask_b32_e32 v12, v4, v15, vcc_lo
	v_cmp_ne_u32_e32 vcc_lo, 0, v5
	v_cvt_f32_f16_e32 v4, v9
	v_lshrrev_b32_e32 v9, 8, v10
	v_mul_f16_e32 v21, v34, v19
	v_and_b32_e32 v13, 7, v12
	s_wait_alu 0xfffd
	v_cndmask_b32_e64 v15, 0, 1, vcc_lo
	v_cvt_f64_f32_e32 v[4:5], v4
	v_fmac_f16_e32 v21, v33, v17
	v_cmp_lt_i32_e32 vcc_lo, 5, v13
	s_delay_alu instid0(VALU_DEP_4)
	v_and_or_b32 v15, 0xffe, v9, v15
	v_sub_nc_u32_e32 v9, 0x3f1, v18
	v_cmp_eq_u32_e64 s0, 3, v13
	v_lshl_or_b32 v13, v6, 16, v11
	v_lshrrev_b32_e32 v6, 2, v12
	v_or_b32_e32 v20, 0x1000, v15
	v_med3_i32 v9, v9, 0, 13
	s_or_b32 vcc_lo, s0, vcc_lo
	v_cvt_f32_f16_e32 v12, v21
	s_wait_alu 0xfffe
	v_add_co_ci_u32_e32 v6, vcc_lo, 0, v6, vcc_lo
	v_lshrrev_b32_e32 v11, v9, v20
	v_cmp_ne_u32_e32 vcc_lo, 0, v7
	v_add_nc_u32_e32 v18, 0xfffffc10, v18
	s_delay_alu instid0(VALU_DEP_3) | instskip(SKIP_4) | instid1(VALU_DEP_3)
	v_lshlrev_b32_e32 v9, v9, v11
	s_wait_alu 0xfffd
	v_cndmask_b32_e64 v7, 0, 1, vcc_lo
	v_cmp_gt_i32_e32 vcc_lo, 31, v16
	v_and_or_b32 v0, 0x1ff, v1, v0
	v_lshl_or_b32 v22, v7, 9, 0x7c00
	s_wait_alu 0xfffd
	v_cndmask_b32_e32 v21, 0x7c00, v6, vcc_lo
	v_cvt_f64_f32_e32 v[6:7], v12
	v_cmp_ne_u32_e32 vcc_lo, v9, v20
	v_mul_f16_e32 v12, v34, v17
	v_lshrrev_b32_e32 v17, 8, v1
	v_bfe_u32 v20, v1, 20, 11
	v_lshrrev_b32_e32 v1, 16, v1
	s_wait_alu 0xfffd
	v_cndmask_b32_e64 v9, 0, 1, vcc_lo
	v_cmp_ne_u32_e32 vcc_lo, 0, v0
	v_mul_f64_e32 v[4:5], s[8:9], v[4:5]
	s_delay_alu instid0(VALU_DEP_3)
	v_or_b32_e32 v9, v11, v9
	s_wait_alu 0xfffd
	v_cndmask_b32_e64 v0, 0, 1, vcc_lo
	v_fma_f16 v11, v33, v19, -v12
	v_lshl_or_b32 v12, v18, 12, v15
	v_cmp_gt_i32_e32 vcc_lo, 1, v18
	s_delay_alu instid0(VALU_DEP_4)
	v_and_or_b32 v0, 0xffe, v17, v0
	v_sub_nc_u32_e32 v17, 0x3f1, v20
	v_cvt_f32_f16_e32 v11, v11
	s_wait_alu 0xfffd
	v_cndmask_b32_e32 v19, v12, v9, vcc_lo
	v_cmp_eq_u32_e32 vcc_lo, 0x40f, v16
	v_or_b32_e32 v23, 0x1000, v0
	v_med3_i32 v17, v17, 0, 13
	v_cvt_f64_f32_e32 v[11:12], v11
	v_add_nc_u32_e32 v20, 0xfffffc10, v20
	s_wait_alu 0xfffd
	v_cndmask_b32_e32 v16, v21, v22, vcc_lo
	v_and_b32_e32 v22, 7, v19
	v_lshrrev_b32_e32 v21, 16, v8
	v_add_co_u32 v8, vcc_lo, v2, s2
	v_lshrrev_b32_e32 v24, v17, v23
	s_wait_alu 0xfffd
	v_add_co_ci_u32_e32 v9, vcc_lo, s3, v3, vcc_lo
	v_cmp_lt_i32_e32 vcc_lo, 5, v22
	v_cmp_eq_u32_e64 s0, 3, v22
	v_lshrrev_b32_e32 v19, 2, v19
	v_lshlrev_b32_e32 v17, v17, v24
	v_mul_f64_e32 v[6:7], s[8:9], v[6:7]
	v_and_or_b32 v16, 0x8000, v21, v16
	s_or_b32 vcc_lo, s0, vcc_lo
	v_lshl_or_b32 v21, v20, 12, v0
	s_wait_alu 0xfffe
	v_add_co_ci_u32_e32 v19, vcc_lo, 0, v19, vcc_lo
	v_cmp_ne_u32_e64 s1, v17, v23
	v_cmp_ne_u32_e32 vcc_lo, 0, v15
	v_and_b32_e32 v16, 0xffff, v16
	v_and_or_b32 v4, 0x1ff, v5, v4
	s_wait_alu 0xf1ff
	v_cndmask_b32_e64 v17, 0, 1, s1
	s_wait_alu 0xfffd
	v_cndmask_b32_e64 v15, 0, 1, vcc_lo
	v_cmp_gt_i32_e32 vcc_lo, 31, v18
	s_delay_alu instid0(VALU_DEP_3) | instskip(NEXT) | instid1(VALU_DEP_3)
	v_or_b32_e32 v17, v24, v17
	v_lshl_or_b32 v15, v15, 9, 0x7c00
	s_wait_alu 0xfffd
	v_cndmask_b32_e32 v19, 0x7c00, v19, vcc_lo
	v_cmp_gt_i32_e32 vcc_lo, 1, v20
	s_wait_alu 0xfffd
	v_cndmask_b32_e32 v17, v21, v17, vcc_lo
	v_cmp_eq_u32_e32 vcc_lo, 0x40f, v18
	v_lshrrev_b32_e32 v18, 16, v10
	v_lshrrev_b32_e32 v21, 8, v5
	v_mul_f64_e32 v[10:11], s[8:9], v[11:12]
	v_bfe_u32 v12, v5, 20, 11
	s_wait_alu 0xfffd
	v_cndmask_b32_e32 v15, v19, v15, vcc_lo
	v_cmp_ne_u32_e32 vcc_lo, 0, v4
	v_and_b32_e32 v19, 7, v17
	v_lshrrev_b32_e32 v5, 16, v5
	s_delay_alu instid0(VALU_DEP_4)
	v_and_or_b32 v15, 0x8000, v18, v15
	s_wait_alu 0xfffd
	v_cndmask_b32_e64 v4, 0, 1, vcc_lo
	v_cmp_lt_i32_e32 vcc_lo, 5, v19
	v_cmp_eq_u32_e64 s0, 3, v19
	v_sub_nc_u32_e32 v18, 0x3f1, v12
	v_lshl_or_b32 v15, v15, 16, v16
	v_lshrrev_b32_e32 v16, 2, v17
	v_and_or_b32 v4, 0xffe, v21, v4
	s_or_b32 vcc_lo, s0, vcc_lo
	v_med3_i32 v18, v18, 0, 13
	v_and_or_b32 v6, 0x1ff, v7, v6
	s_wait_alu 0xfffe
	v_add_co_ci_u32_e32 v16, vcc_lo, 0, v16, vcc_lo
	v_or_b32_e32 v17, 0x1000, v4
	v_cmp_ne_u32_e32 vcc_lo, 0, v0
	v_lshrrev_b32_e32 v21, 8, v7
	v_bfe_u32 v22, v7, 20, 11
	v_add_nc_u32_e32 v12, 0xfffffc10, v12
	v_lshrrev_b32_e32 v19, v18, v17
	s_wait_alu 0xfffd
	v_cndmask_b32_e64 v0, 0, 1, vcc_lo
	v_cmp_gt_i32_e32 vcc_lo, 31, v20
	v_lshrrev_b32_e32 v7, 16, v7
	v_lshlrev_b32_e32 v18, v18, v19
	s_delay_alu instid0(VALU_DEP_4)
	v_lshl_or_b32 v0, v0, 9, 0x7c00
	s_wait_alu 0xfffd
	v_cndmask_b32_e32 v16, 0x7c00, v16, vcc_lo
	v_cmp_ne_u32_e32 vcc_lo, 0, v6
	s_wait_alu 0xfffd
	v_cndmask_b32_e64 v6, 0, 1, vcc_lo
	v_cmp_ne_u32_e32 vcc_lo, v18, v17
	v_sub_nc_u32_e32 v18, 0x3f1, v22
	v_and_or_b32 v10, 0x1ff, v11, v10
	s_delay_alu instid0(VALU_DEP_4)
	v_and_or_b32 v6, 0xffe, v21, v6
	s_wait_alu 0xfffd
	v_cndmask_b32_e64 v17, 0, 1, vcc_lo
	v_cmp_eq_u32_e32 vcc_lo, 0x40f, v20
	v_med3_i32 v18, v18, 0, 13
	v_lshrrev_b32_e32 v20, 8, v11
	v_bfe_u32 v21, v11, 20, 11
	s_wait_alu 0xfffd
	v_cndmask_b32_e32 v0, v16, v0, vcc_lo
	v_or_b32_e32 v16, v19, v17
	v_lshl_or_b32 v17, v12, 12, v4
	v_or_b32_e32 v19, 0x1000, v6
	v_cmp_gt_i32_e32 vcc_lo, 1, v12
	v_and_or_b32 v0, 0x8000, v1, v0
	s_wait_alu 0xfffd
	v_cndmask_b32_e32 v16, v17, v16, vcc_lo
	v_lshrrev_b32_e32 v17, v18, v19
	v_cmp_ne_u32_e32 vcc_lo, 0, v10
	s_delay_alu instid0(VALU_DEP_3) | instskip(NEXT) | instid1(VALU_DEP_3)
	v_and_b32_e32 v23, 7, v16
	v_lshlrev_b32_e32 v18, v18, v17
	s_wait_alu 0xfffd
	v_cndmask_b32_e64 v10, 0, 1, vcc_lo
	v_lshrrev_b32_e32 v16, 2, v16
	v_cmp_lt_i32_e32 vcc_lo, 5, v23
	v_cmp_ne_u32_e64 s0, v18, v19
	s_delay_alu instid0(VALU_DEP_4)
	v_and_or_b32 v1, 0xffe, v20, v10
	v_sub_nc_u32_e32 v10, 0x3f1, v21
	v_add_nc_u32_e32 v20, 0xfffffc10, v22
	s_wait_alu 0xf1ff
	v_cndmask_b32_e64 v18, 0, 1, s0
	v_cmp_eq_u32_e64 s0, 3, v23
	v_or_b32_e32 v19, 0x1000, v1
	v_med3_i32 v10, v10, 0, 13
	v_lshl_or_b32 v22, v20, 12, v6
	v_or_b32_e32 v17, v17, v18
	s_or_b32 vcc_lo, s0, vcc_lo
	s_wait_alu 0xfffe
	v_add_co_ci_u32_e32 v16, vcc_lo, 0, v16, vcc_lo
	v_lshrrev_b32_e32 v18, v10, v19
	v_cmp_gt_i32_e32 vcc_lo, 1, v20
	s_delay_alu instid0(VALU_DEP_2)
	v_lshlrev_b32_e32 v10, v10, v18
	s_wait_alu 0xfffd
	v_cndmask_b32_e32 v17, v22, v17, vcc_lo
	v_cmp_ne_u32_e32 vcc_lo, 0, v4
	s_wait_alu 0xfffd
	v_cndmask_b32_e64 v4, 0, 1, vcc_lo
	v_cmp_ne_u32_e32 vcc_lo, v10, v19
	v_add_nc_u32_e32 v19, 0xfffffc10, v21
	v_and_b32_e32 v21, 7, v17
	s_delay_alu instid0(VALU_DEP_4)
	v_lshl_or_b32 v4, v4, 9, 0x7c00
	s_wait_alu 0xfffd
	v_cndmask_b32_e64 v10, 0, 1, vcc_lo
	v_cmp_gt_i32_e32 vcc_lo, 31, v12
	v_cmp_gt_i32_e64 s1, 1, v19
	v_cmp_eq_u32_e64 s0, 3, v21
	s_delay_alu instid0(VALU_DEP_4)
	v_or_b32_e32 v10, v18, v10
	v_lshl_or_b32 v18, v19, 12, v1
	s_wait_alu 0xfffd
	v_cndmask_b32_e32 v16, 0x7c00, v16, vcc_lo
	v_cmp_lt_i32_e32 vcc_lo, 5, v21
	s_wait_alu 0xf1ff
	v_cndmask_b32_e64 v10, v18, v10, s1
	v_cmp_eq_u32_e64 s1, 0x40f, v12
	v_lshrrev_b32_e32 v12, 2, v17
	s_or_b32 vcc_lo, s0, vcc_lo
	s_delay_alu instid0(VALU_DEP_2) | instskip(SKIP_1) | instid1(VALU_DEP_2)
	v_cndmask_b32_e64 v4, v16, v4, s1
	s_wait_alu 0xfffe
	v_add_co_ci_u32_e32 v12, vcc_lo, 0, v12, vcc_lo
	v_and_b32_e32 v16, 7, v10
	v_cmp_ne_u32_e32 vcc_lo, 0, v6
	v_lshrrev_b32_e32 v10, 2, v10
	v_cmp_gt_i32_e64 s1, 31, v20
	v_and_or_b32 v4, 0x8000, v5, v4
	v_cmp_eq_u32_e64 s0, 3, v16
	s_wait_alu 0xfffd
	v_cndmask_b32_e64 v6, 0, 1, vcc_lo
	v_cmp_lt_i32_e32 vcc_lo, 5, v16
	s_wait_alu 0xf1ff
	v_cndmask_b32_e64 v12, 0x7c00, v12, s1
	v_and_b32_e32 v5, 0xffff, v0
	v_lshl_or_b32 v6, v6, 9, 0x7c00
	s_or_b32 vcc_lo, s0, vcc_lo
	s_wait_alu 0xfffe
	v_add_co_ci_u32_e32 v10, vcc_lo, 0, v10, vcc_lo
	v_cmp_ne_u32_e32 vcc_lo, 0, v1
	s_wait_alu 0xfffd
	v_cndmask_b32_e64 v1, 0, 1, vcc_lo
	v_cmp_eq_u32_e32 vcc_lo, 0x40f, v20
	s_delay_alu instid0(VALU_DEP_2) | instskip(SKIP_3) | instid1(VALU_DEP_2)
	v_lshl_or_b32 v1, v1, 9, 0x7c00
	s_wait_alu 0xfffd
	v_cndmask_b32_e32 v6, v12, v6, vcc_lo
	v_cmp_gt_i32_e32 vcc_lo, 31, v19
	v_and_or_b32 v6, 0x8000, v7, v6
	s_wait_alu 0xfffd
	v_cndmask_b32_e32 v10, 0x7c00, v10, vcc_lo
	v_cmp_eq_u32_e32 vcc_lo, 0x40f, v19
	s_wait_alu 0xfffd
	s_delay_alu instid0(VALU_DEP_2)
	v_dual_cndmask_b32 v7, v10, v1 :: v_dual_and_b32 v6, 0xffff, v6
	v_lshrrev_b32_e32 v10, 16, v11
	v_add_co_u32 v0, vcc_lo, v8, s2
	s_wait_alu 0xfffd
	v_add_co_ci_u32_e32 v1, vcc_lo, s3, v9, vcc_lo
	v_lshl_or_b32 v11, v4, 16, v5
	v_and_or_b32 v7, 0x8000, v10, v7
	v_add_co_u32 v4, vcc_lo, v0, s2
	s_wait_alu 0xfffd
	v_add_co_ci_u32_e32 v5, vcc_lo, s3, v1, vcc_lo
	s_delay_alu instid0(VALU_DEP_3) | instskip(NEXT) | instid1(VALU_DEP_3)
	v_lshl_or_b32 v10, v7, 16, v6
	v_add_co_u32 v6, vcc_lo, v4, s2
	s_wait_alu 0xfffd
	s_delay_alu instid0(VALU_DEP_3)
	v_add_co_ci_u32_e32 v7, vcc_lo, s3, v5, vcc_lo
	global_store_b32 v[2:3], v14, off
	global_store_b32 v[8:9], v13, off
	;; [unrolled: 1-line block ×5, first 2 shown]
.LBB0_10:
	s_nop 0
	s_sendmsg sendmsg(MSG_DEALLOC_VGPRS)
	s_endpgm
	.section	.rodata,"a",@progbits
	.p2align	6, 0x0
	.amdhsa_kernel bluestein_single_fwd_len726_dim1_half_op_CI_CI
		.amdhsa_group_segment_fixed_size 5808
		.amdhsa_private_segment_fixed_size 0
		.amdhsa_kernarg_size 104
		.amdhsa_user_sgpr_count 2
		.amdhsa_user_sgpr_dispatch_ptr 0
		.amdhsa_user_sgpr_queue_ptr 0
		.amdhsa_user_sgpr_kernarg_segment_ptr 1
		.amdhsa_user_sgpr_dispatch_id 0
		.amdhsa_user_sgpr_private_segment_size 0
		.amdhsa_wavefront_size32 1
		.amdhsa_uses_dynamic_stack 0
		.amdhsa_enable_private_segment 0
		.amdhsa_system_sgpr_workgroup_id_x 1
		.amdhsa_system_sgpr_workgroup_id_y 0
		.amdhsa_system_sgpr_workgroup_id_z 0
		.amdhsa_system_sgpr_workgroup_info 0
		.amdhsa_system_vgpr_workitem_id 0
		.amdhsa_next_free_vgpr 196
		.amdhsa_next_free_sgpr 20
		.amdhsa_reserve_vcc 1
		.amdhsa_float_round_mode_32 0
		.amdhsa_float_round_mode_16_64 0
		.amdhsa_float_denorm_mode_32 3
		.amdhsa_float_denorm_mode_16_64 3
		.amdhsa_fp16_overflow 0
		.amdhsa_workgroup_processor_mode 1
		.amdhsa_memory_ordered 1
		.amdhsa_forward_progress 0
		.amdhsa_round_robin_scheduling 0
		.amdhsa_exception_fp_ieee_invalid_op 0
		.amdhsa_exception_fp_denorm_src 0
		.amdhsa_exception_fp_ieee_div_zero 0
		.amdhsa_exception_fp_ieee_overflow 0
		.amdhsa_exception_fp_ieee_underflow 0
		.amdhsa_exception_fp_ieee_inexact 0
		.amdhsa_exception_int_div_zero 0
	.end_amdhsa_kernel
	.text
.Lfunc_end0:
	.size	bluestein_single_fwd_len726_dim1_half_op_CI_CI, .Lfunc_end0-bluestein_single_fwd_len726_dim1_half_op_CI_CI
                                        ; -- End function
	.section	.AMDGPU.csdata,"",@progbits
; Kernel info:
; codeLenInByte = 21728
; NumSgprs: 22
; NumVgprs: 196
; ScratchSize: 0
; MemoryBound: 0
; FloatMode: 240
; IeeeMode: 1
; LDSByteSize: 5808 bytes/workgroup (compile time only)
; SGPRBlocks: 2
; VGPRBlocks: 24
; NumSGPRsForWavesPerEU: 22
; NumVGPRsForWavesPerEU: 196
; Occupancy: 7
; WaveLimiterHint : 1
; COMPUTE_PGM_RSRC2:SCRATCH_EN: 0
; COMPUTE_PGM_RSRC2:USER_SGPR: 2
; COMPUTE_PGM_RSRC2:TRAP_HANDLER: 0
; COMPUTE_PGM_RSRC2:TGID_X_EN: 1
; COMPUTE_PGM_RSRC2:TGID_Y_EN: 0
; COMPUTE_PGM_RSRC2:TGID_Z_EN: 0
; COMPUTE_PGM_RSRC2:TIDIG_COMP_CNT: 0
	.text
	.p2alignl 7, 3214868480
	.fill 96, 4, 3214868480
	.type	__hip_cuid_f0da3c9232f6225a,@object ; @__hip_cuid_f0da3c9232f6225a
	.section	.bss,"aw",@nobits
	.globl	__hip_cuid_f0da3c9232f6225a
__hip_cuid_f0da3c9232f6225a:
	.byte	0                               ; 0x0
	.size	__hip_cuid_f0da3c9232f6225a, 1

	.ident	"AMD clang version 19.0.0git (https://github.com/RadeonOpenCompute/llvm-project roc-6.4.0 25133 c7fe45cf4b819c5991fe208aaa96edf142730f1d)"
	.section	".note.GNU-stack","",@progbits
	.addrsig
	.addrsig_sym __hip_cuid_f0da3c9232f6225a
	.amdgpu_metadata
---
amdhsa.kernels:
  - .args:
      - .actual_access:  read_only
        .address_space:  global
        .offset:         0
        .size:           8
        .value_kind:     global_buffer
      - .actual_access:  read_only
        .address_space:  global
        .offset:         8
        .size:           8
        .value_kind:     global_buffer
      - .actual_access:  read_only
        .address_space:  global
        .offset:         16
        .size:           8
        .value_kind:     global_buffer
      - .actual_access:  read_only
        .address_space:  global
        .offset:         24
        .size:           8
        .value_kind:     global_buffer
      - .actual_access:  read_only
        .address_space:  global
        .offset:         32
        .size:           8
        .value_kind:     global_buffer
      - .offset:         40
        .size:           8
        .value_kind:     by_value
      - .address_space:  global
        .offset:         48
        .size:           8
        .value_kind:     global_buffer
      - .address_space:  global
        .offset:         56
        .size:           8
        .value_kind:     global_buffer
      - .address_space:  global
        .offset:         64
        .size:           8
        .value_kind:     global_buffer
      - .address_space:  global
        .offset:         72
        .size:           8
        .value_kind:     global_buffer
      - .offset:         80
        .size:           4
        .value_kind:     by_value
      - .address_space:  global
        .offset:         88
        .size:           8
        .value_kind:     global_buffer
      - .address_space:  global
        .offset:         96
        .size:           8
        .value_kind:     global_buffer
    .group_segment_fixed_size: 5808
    .kernarg_segment_align: 8
    .kernarg_segment_size: 104
    .language:       OpenCL C
    .language_version:
      - 2
      - 0
    .max_flat_workgroup_size: 132
    .name:           bluestein_single_fwd_len726_dim1_half_op_CI_CI
    .private_segment_fixed_size: 0
    .sgpr_count:     22
    .sgpr_spill_count: 0
    .symbol:         bluestein_single_fwd_len726_dim1_half_op_CI_CI.kd
    .uniform_work_group_size: 1
    .uses_dynamic_stack: false
    .vgpr_count:     196
    .vgpr_spill_count: 0
    .wavefront_size: 32
    .workgroup_processor_mode: 1
amdhsa.target:   amdgcn-amd-amdhsa--gfx1201
amdhsa.version:
  - 1
  - 2
...

	.end_amdgpu_metadata
